;; amdgpu-corpus repo=ROCm/rocFFT kind=compiled arch=gfx1030 opt=O3
	.text
	.amdgcn_target "amdgcn-amd-amdhsa--gfx1030"
	.amdhsa_code_object_version 6
	.protected	bluestein_single_back_len1176_dim1_dp_op_CI_CI ; -- Begin function bluestein_single_back_len1176_dim1_dp_op_CI_CI
	.globl	bluestein_single_back_len1176_dim1_dp_op_CI_CI
	.p2align	8
	.type	bluestein_single_back_len1176_dim1_dp_op_CI_CI,@function
bluestein_single_back_len1176_dim1_dp_op_CI_CI: ; @bluestein_single_back_len1176_dim1_dp_op_CI_CI
; %bb.0:
	s_load_dwordx4 s[12:15], s[4:5], 0x28
	v_mul_u32_u24_e32 v1, 0x493, v0
	s_mov_b64 s[38:39], s[2:3]
	s_mov_b64 s[36:37], s[0:1]
	v_mov_b32_e32 v10, 0
	s_add_u32 s36, s36, s7
	v_lshrrev_b32_e32 v1, 16, v1
	s_addc_u32 s37, s37, 0
	s_mov_b32 s0, exec_lo
	v_add_nc_u32_e32 v9, s6, v1
	s_waitcnt lgkmcnt(0)
	v_cmpx_gt_u64_e64 s[12:13], v[9:10]
	s_cbranch_execz .LBB0_31
; %bb.1:
	v_mul_lo_u16 v1, v1, 56
	s_clause 0x1
	s_load_dwordx4 s[0:3], s[4:5], 0x18
	s_load_dwordx2 s[12:13], s[4:5], 0x0
	v_mov_b32_e32 v10, v9
	v_sub_nc_u16 v2, v0, v1
	v_and_b32_e32 v178, 0xffff, v2
	v_or_b32_e32 v14, 0x1c0, v178
	v_lshlrev_b32_e32 v176, 4, v178
	s_waitcnt lgkmcnt(0)
	s_load_dwordx4 s[8:11], s[0:1], 0x0
	v_lshlrev_b32_e32 v11, 4, v14
	s_clause 0x2
	global_load_dwordx4 v[195:198], v176, s[12:13]
	global_load_dwordx4 v[183:186], v176, s[12:13] offset:896
	global_load_dwordx4 v[119:122], v176, s[12:13] offset:1792
	v_add_co_u32 v77, s0, s12, v176
	buffer_store_dword v10, off, s[36:39], 0 offset:36 ; 4-byte Folded Spill
	buffer_store_dword v11, off, s[36:39], 0 offset:40 ; 4-byte Folded Spill
	v_add_co_ci_u32_e64 v78, null, s13, 0, s0
	v_add_co_u32 v12, vcc_lo, 0x2000, v77
	v_add_co_ci_u32_e32 v13, vcc_lo, 0, v78, vcc_lo
	v_add_co_u32 v3, vcc_lo, 0x2800, v77
	v_add_co_ci_u32_e32 v4, vcc_lo, 0, v78, vcc_lo
	v_add_co_u32 v7, vcc_lo, 0x800, v77
	s_waitcnt lgkmcnt(0)
	v_mad_u64_u32 v[0:1], null, s10, v9, 0
	v_mad_u64_u32 v[5:6], null, s8, v178, 0
	v_add_co_ci_u32_e32 v8, vcc_lo, 0, v78, vcc_lo
	v_add_co_u32 v27, vcc_lo, 0x3000, v77
	v_mad_u64_u32 v[9:10], null, s11, v9, v[1:2]
	v_add_co_ci_u32_e32 v28, vcc_lo, 0, v78, vcc_lo
	v_add_co_u32 v31, vcc_lo, 0x1000, v77
	v_add_co_ci_u32_e32 v32, vcc_lo, 0, v78, vcc_lo
	v_mov_b32_e32 v1, v9
	s_mul_i32 s1, s9, 0x24c
	s_mul_hi_u32 s7, s8, 0x24c
	s_mul_i32 s0, s8, 0x24c
	s_add_i32 s1, s7, s1
	v_lshlrev_b64 v[0:1], 4, v[0:1]
	s_mul_hi_u32 s11, s8, 0xfffffdec
	s_mul_i32 s10, s9, 0xfffffdec
	s_sub_i32 s7, s11, s8
	s_mul_i32 s6, s8, 0xfffffdec
	s_add_i32 s7, s7, s10
	v_add_co_u32 v9, vcc_lo, s14, v0
	buffer_store_dword v11, off, s[36:39], 0 offset:372 ; 4-byte Folded Spill
	global_load_dwordx4 v[111:114], v11, s[12:13]
	buffer_store_dword v12, off, s[36:39], 0 offset:24 ; 4-byte Folded Spill
	buffer_store_dword v13, off, s[36:39], 0 offset:28 ; 4-byte Folded Spill
	v_mad_u64_u32 v[10:11], null, s9, v178, v[6:7]
	v_mov_b32_e32 v6, v10
	v_add_co_ci_u32_e32 v10, vcc_lo, s15, v1, vcc_lo
	s_lshl_b64 s[14:15], s[0:1], 4
	s_lshl_b64 s[0:1], s[6:7], 4
	v_lshlrev_b64 v[5:6], 4, v[5:6]
	s_load_dwordx2 s[6:7], s[4:5], 0x38
	v_add_co_u32 v0, vcc_lo, v9, v5
	v_add_co_ci_u32_e32 v1, vcc_lo, v10, v6, vcc_lo
	v_mad_u64_u32 v[5:6], null, s8, v14, 0
	v_add_co_u32 v11, vcc_lo, v0, s14
	global_load_dwordx4 v[191:194], v[12:13], off offset:1216
	v_add_co_ci_u32_e32 v12, vcc_lo, s15, v1, vcc_lo
	v_add_co_u32 v15, vcc_lo, v11, s0
	s_clause 0x1
	global_load_dwordx4 v[187:190], v[3:4], off offset:64
	global_load_dwordx4 v[179:182], v[3:4], off offset:960
	v_add_co_ci_u32_e32 v16, vcc_lo, s1, v12, vcc_lo
	v_add_co_u32 v19, vcc_lo, v15, s14
	global_load_dwordx4 v[115:118], v[3:4], off offset:1856
	v_add_co_ci_u32_e32 v20, vcc_lo, s15, v16, vcc_lo
	v_add_co_u32 v23, vcc_lo, v19, s0
	v_mov_b32_e32 v3, v6
	v_add_co_ci_u32_e32 v24, vcc_lo, s1, v20, vcc_lo
	v_add_co_u32 v29, vcc_lo, v23, s14
	v_mad_u64_u32 v[3:4], null, s9, v14, v[3:4]
	v_add_co_ci_u32_e32 v30, vcc_lo, s15, v24, vcc_lo
	v_add_co_u32 v33, vcc_lo, v29, s0
	buffer_store_dword v14, off, s[36:39], 0 offset:32 ; 4-byte Folded Spill
	v_add_co_ci_u32_e32 v34, vcc_lo, s1, v30, vcc_lo
	v_add_co_u32 v35, vcc_lo, v33, s14
	v_mov_b32_e32 v6, v3
	v_add_co_ci_u32_e32 v36, vcc_lo, s15, v34, vcc_lo
	v_add_co_u32 v39, vcc_lo, v35, s0
	v_lshlrev_b64 v[3:4], 4, v[5:6]
	v_add_co_ci_u32_e32 v40, vcc_lo, s1, v36, vcc_lo
	v_add_co_u32 v43, vcc_lo, v39, s14
	s_clause 0x1
	global_load_dwordx4 v[169:172], v[7:8], off offset:640
	global_load_dwordx4 v[161:164], v[7:8], off offset:1536
	v_add_co_ci_u32_e32 v44, vcc_lo, s15, v40, vcc_lo
	v_add_co_u32 v47, vcc_lo, v43, s0
	v_add_co_ci_u32_e32 v48, vcc_lo, s1, v44, vcc_lo
	v_add_co_u32 v3, vcc_lo, v9, v3
	;; [unrolled: 2-line block ×3, first 2 shown]
	v_add_co_ci_u32_e32 v52, vcc_lo, s15, v48, vcc_lo
	global_load_dwordx4 v[3:6], v[3:4], off
	v_add_co_u32 v55, vcc_lo, v51, s0
	v_add_co_ci_u32_e32 v56, vcc_lo, s1, v52, vcc_lo
	s_clause 0x1
	global_load_dwordx4 v[7:10], v[0:1], off
	global_load_dwordx4 v[11:14], v[11:12], off
	v_add_co_u32 v0, vcc_lo, v55, s14
	v_add_co_ci_u32_e32 v1, vcc_lo, s15, v56, vcc_lo
	s_clause 0x1
	global_load_dwordx4 v[15:18], v[15:16], off
	global_load_dwordx4 v[19:22], v[19:20], off
	v_add_co_u32 v63, vcc_lo, v0, s0
	v_add_co_ci_u32_e32 v64, vcc_lo, s1, v1, vcc_lo
	global_load_dwordx4 v[23:26], v[23:24], off
	v_add_co_u32 v67, vcc_lo, v63, s14
	v_add_co_ci_u32_e32 v68, vcc_lo, s15, v64, vcc_lo
	s_clause 0x1
	global_load_dwordx4 v[165:168], v[27:28], off offset:704
	global_load_dwordx4 v[145:148], v[27:28], off offset:1600
	global_load_dwordx4 v[27:30], v[29:30], off
	s_clause 0x1
	global_load_dwordx4 v[157:160], v[31:32], off offset:384
	global_load_dwordx4 v[153:156], v[31:32], off offset:1280
	global_load_dwordx4 v[31:34], v[33:34], off
	global_load_dwordx4 v[35:38], v[35:36], off
	;; [unrolled: 1-line block ×8, first 2 shown]
	v_mad_u64_u32 v[75:76], null, 0x380, s8, v[67:68]
	v_add_co_u32 v79, vcc_lo, 0x1800, v77
	v_add_co_ci_u32_e32 v80, vcc_lo, 0, v78, vcc_lo
	v_add_co_u32 v71, vcc_lo, 0x3800, v77
	v_mov_b32_e32 v65, v76
	v_add_co_ci_u32_e32 v72, vcc_lo, 0, v78, vcc_lo
	v_mad_u64_u32 v[0:1], null, 0x380, s9, v[65:66]
	global_load_dwordx4 v[63:66], v[63:64], off
	v_mov_b32_e32 v76, v0
	global_load_dwordx4 v[129:132], v[79:80], off offset:128
	global_load_dwordx4 v[67:70], v[67:68], off
	s_clause 0x1
	global_load_dwordx4 v[149:152], v[71:72], off offset:448
	global_load_dwordx4 v[125:128], v[71:72], off offset:1344
	global_load_dwordx4 v[71:74], v[75:76], off
	v_add_co_u32 v75, vcc_lo, v75, s0
	v_add_co_ci_u32_e32 v76, vcc_lo, s1, v76, vcc_lo
	v_add_co_u32 v81, vcc_lo, 0x4000, v77
	v_add_co_ci_u32_e32 v82, vcc_lo, 0, v78, vcc_lo
	v_add_co_u32 v0, vcc_lo, v75, s14
	v_add_co_ci_u32_e32 v1, vcc_lo, s15, v76, vcc_lo
	global_load_dwordx4 v[137:140], v[81:82], off offset:192
	global_load_dwordx4 v[75:78], v[75:76], off
	global_load_dwordx4 v[133:136], v[79:80], off offset:1920
	buffer_store_dword v81, off, s[36:39], 0 offset:60 ; 4-byte Folded Spill
	buffer_store_dword v82, off, s[36:39], 0 offset:64 ; 4-byte Folded Spill
	v_cmp_gt_u16_e32 vcc_lo, 28, v2
	global_load_dwordx4 v[141:144], v[81:82], off offset:1088
	global_load_dwordx4 v[79:82], v[0:1], off
	s_waitcnt vmcnt(28)
	v_mul_f64 v[83:84], v[9:10], v[197:198]
	v_mul_f64 v[87:88], v[5:6], v[113:114]
	;; [unrolled: 1-line block ×4, first 2 shown]
	s_load_dwordx4 s[8:11], s[2:3], 0x0
	s_waitcnt vmcnt(27)
	v_mul_f64 v[91:92], v[13:14], v[193:194]
	v_mul_f64 v[93:94], v[11:12], v[193:194]
	s_waitcnt vmcnt(26)
	v_mul_f64 v[95:96], v[17:18], v[185:186]
	s_waitcnt vmcnt(25)
	;; [unrolled: 2-line block ×4, first 2 shown]
	v_mul_f64 v[107:108], v[29:30], v[181:182]
	v_mul_f64 v[97:98], v[15:16], v[185:186]
	;; [unrolled: 1-line block ×5, first 2 shown]
	v_fma_f64 v[7:8], v[7:8], v[195:196], v[83:84]
	buffer_store_dword v195, off, s[36:39], 0 offset:356 ; 4-byte Folded Spill
	buffer_store_dword v196, off, s[36:39], 0 offset:360 ; 4-byte Folded Spill
	;; [unrolled: 1-line block ×4, first 2 shown]
	v_fma_f64 v[3:4], v[3:4], v[111:112], v[87:88]
	buffer_store_dword v111, off, s[36:39], 0 offset:44 ; 4-byte Folded Spill
	buffer_store_dword v112, off, s[36:39], 0 offset:48 ; 4-byte Folded Spill
	;; [unrolled: 1-line block ×4, first 2 shown]
	s_waitcnt vmcnt(18)
	v_mul_f64 v[83:84], v[33:34], v[171:172]
	s_waitcnt vmcnt(17)
	v_mul_f64 v[87:88], v[37:38], v[117:118]
	v_fma_f64 v[11:12], v[11:12], v[191:192], v[91:92]
	buffer_store_dword v191, off, s[36:39], 0 offset:340 ; 4-byte Folded Spill
	buffer_store_dword v192, off, s[36:39], 0 offset:344 ; 4-byte Folded Spill
	buffer_store_dword v193, off, s[36:39], 0 offset:348 ; 4-byte Folded Spill
	buffer_store_dword v194, off, s[36:39], 0 offset:352 ; 4-byte Folded Spill
	v_fma_f64 v[15:16], v[15:16], v[183:184], v[95:96]
	buffer_store_dword v183, off, s[36:39], 0 offset:308 ; 4-byte Folded Spill
	buffer_store_dword v184, off, s[36:39], 0 offset:312 ; 4-byte Folded Spill
	buffer_store_dword v185, off, s[36:39], 0 offset:316 ; 4-byte Folded Spill
	buffer_store_dword v186, off, s[36:39], 0 offset:320 ; 4-byte Folded Spill
	;; [unrolled: 5-line block ×5, first 2 shown]
	s_waitcnt vmcnt(16)
	v_mul_f64 v[91:92], v[41:42], v[163:164]
	s_waitcnt vmcnt(15)
	v_mul_f64 v[95:96], v[45:46], v[167:168]
	;; [unrolled: 2-line block ×4, first 2 shown]
	v_mul_f64 v[107:108], v[65:66], v[131:132]
	s_waitcnt vmcnt(6)
	v_mul_f64 v[113:114], v[67:68], v[127:128]
	s_waitcnt vmcnt(0)
	v_mul_f64 v[121:122], v[81:82], v[143:144]
	v_mul_f64 v[123:124], v[79:80], v[143:144]
	v_fma_f64 v[9:10], v[9:10], v[195:196], -v[85:86]
	v_mul_f64 v[85:86], v[31:32], v[171:172]
	v_fma_f64 v[5:6], v[5:6], v[111:112], -v[89:90]
	v_mul_f64 v[89:90], v[35:36], v[117:118]
	v_fma_f64 v[31:32], v[31:32], v[169:170], v[83:84]
	buffer_store_dword v169, off, s[36:39], 0 offset:276 ; 4-byte Folded Spill
	buffer_store_dword v170, off, s[36:39], 0 offset:280 ; 4-byte Folded Spill
	;; [unrolled: 1-line block ×4, first 2 shown]
	v_fma_f64 v[35:36], v[35:36], v[115:116], v[87:88]
	buffer_store_dword v115, off, s[36:39], 0 offset:212 ; 4-byte Folded Spill
	buffer_store_dword v116, off, s[36:39], 0 offset:216 ; 4-byte Folded Spill
	;; [unrolled: 1-line block ×4, first 2 shown]
	v_fma_f64 v[13:14], v[13:14], v[191:192], -v[93:94]
	v_mul_f64 v[93:94], v[39:40], v[163:164]
	v_mul_f64 v[83:84], v[53:54], v[147:148]
	;; [unrolled: 1-line block ×4, first 2 shown]
	v_fma_f64 v[39:40], v[39:40], v[161:162], v[91:92]
	v_mul_f64 v[91:92], v[73:74], v[139:140]
	v_mul_f64 v[117:118], v[77:78], v[135:136]
	v_fma_f64 v[17:18], v[17:18], v[183:184], -v[97:98]
	v_fma_f64 v[21:22], v[21:22], v[187:188], -v[101:102]
	;; [unrolled: 1-line block ×3, first 2 shown]
	v_mul_f64 v[97:98], v[43:44], v[167:168]
	v_fma_f64 v[29:30], v[29:30], v[179:180], -v[109:110]
	v_mul_f64 v[101:102], v[47:48], v[159:160]
	v_mul_f64 v[105:106], v[59:60], v[151:152]
	;; [unrolled: 1-line block ×3, first 2 shown]
	buffer_store_dword v161, off, s[36:39], 0 offset:228 ; 4-byte Folded Spill
	buffer_store_dword v162, off, s[36:39], 0 offset:232 ; 4-byte Folded Spill
	buffer_store_dword v163, off, s[36:39], 0 offset:236 ; 4-byte Folded Spill
	buffer_store_dword v164, off, s[36:39], 0 offset:240 ; 4-byte Folded Spill
	v_fma_f64 v[43:44], v[43:44], v[165:166], v[95:96]
	buffer_store_dword v165, off, s[36:39], 0 offset:260 ; 4-byte Folded Spill
	buffer_store_dword v166, off, s[36:39], 0 offset:264 ; 4-byte Folded Spill
	buffer_store_dword v167, off, s[36:39], 0 offset:268 ; 4-byte Folded Spill
	buffer_store_dword v168, off, s[36:39], 0 offset:272 ; 4-byte Folded Spill
	v_fma_f64 v[47:48], v[47:48], v[157:158], v[99:100]
	buffer_store_dword v157, off, s[36:39], 0 offset:196 ; 4-byte Folded Spill
	buffer_store_dword v158, off, s[36:39], 0 offset:200 ; 4-byte Folded Spill
	buffer_store_dword v159, off, s[36:39], 0 offset:204 ; 4-byte Folded Spill
	buffer_store_dword v160, off, s[36:39], 0 offset:208 ; 4-byte Folded Spill
	v_fma_f64 v[59:60], v[59:60], v[149:150], v[103:104]
	v_fma_f64 v[63:64], v[63:64], v[129:130], v[107:108]
	v_mul_f64 v[119:120], v[75:76], v[135:136]
	v_fma_f64 v[67:68], v[67:68], v[125:126], v[111:112]
	v_fma_f64 v[33:34], v[33:34], v[169:170], -v[85:86]
	v_mul_f64 v[85:86], v[51:52], v[147:148]
	v_fma_f64 v[37:38], v[37:38], v[115:116], -v[89:90]
	v_mul_f64 v[89:90], v[55:56], v[155:156]
	v_mul_f64 v[115:116], v[71:72], v[139:140]
	v_fma_f64 v[51:52], v[51:52], v[145:146], v[83:84]
	buffer_store_dword v145, off, s[36:39], 0 offset:148 ; 4-byte Folded Spill
	buffer_store_dword v146, off, s[36:39], 0 offset:152 ; 4-byte Folded Spill
	;; [unrolled: 1-line block ×4, first 2 shown]
	v_fma_f64 v[55:56], v[55:56], v[153:154], v[87:88]
	buffer_store_dword v153, off, s[36:39], 0 offset:180 ; 4-byte Folded Spill
	buffer_store_dword v154, off, s[36:39], 0 offset:184 ; 4-byte Folded Spill
	;; [unrolled: 1-line block ×16, first 2 shown]
	ds_write_b128 v176, v[7:10]
	v_fma_f64 v[7:8], v[71:72], v[137:138], v[91:92]
	buffer_store_dword v137, off, s[36:39], 0 offset:116 ; 4-byte Folded Spill
	buffer_store_dword v138, off, s[36:39], 0 offset:120 ; 4-byte Folded Spill
	buffer_store_dword v139, off, s[36:39], 0 offset:124 ; 4-byte Folded Spill
	buffer_store_dword v140, off, s[36:39], 0 offset:128 ; 4-byte Folded Spill
	v_fma_f64 v[71:72], v[75:76], v[133:134], v[117:118]
	buffer_store_dword v133, off, s[36:39], 0 offset:100 ; 4-byte Folded Spill
	buffer_store_dword v134, off, s[36:39], 0 offset:104 ; 4-byte Folded Spill
	buffer_store_dword v135, off, s[36:39], 0 offset:108 ; 4-byte Folded Spill
	buffer_store_dword v136, off, s[36:39], 0 offset:112 ; 4-byte Folded Spill
	;; [unrolled: 5-line block ×3, first 2 shown]
	v_fma_f64 v[41:42], v[41:42], v[161:162], -v[93:94]
	v_fma_f64 v[45:46], v[45:46], v[165:166], -v[97:98]
	;; [unrolled: 1-line block ×8, first 2 shown]
	ds_write_b128 v176, v[11:14] offset:9408
	ds_write_b128 v176, v[15:18] offset:896
	;; [unrolled: 1-line block ×15, first 2 shown]
	v_fma_f64 v[9:10], v[73:74], v[137:138], -v[115:116]
	v_fma_f64 v[73:74], v[77:78], v[133:134], -v[119:120]
	;; [unrolled: 1-line block ×3, first 2 shown]
	ds_write_b128 v176, v[3:6] offset:7168
	ds_write_b128 v176, v[7:10] offset:16576
	;; [unrolled: 1-line block ×4, first 2 shown]
	s_and_saveexec_b32 s2, vcc_lo
	s_cbranch_execz .LBB0_3
; %bb.2:
	v_add_co_u32 v0, s0, v0, s0
	v_add_co_ci_u32_e64 v1, s0, s1, v1, s0
	v_add_co_u32 v12, s0, v0, s14
	v_add_co_ci_u32_e64 v13, s0, s15, v1, s0
	global_load_dwordx4 v[0:3], v[0:1], off
	s_clause 0x1
	buffer_load_dword v4, off, s[36:39], 0 offset:24
	buffer_load_dword v5, off, s[36:39], 0 offset:28
	s_waitcnt vmcnt(0)
	global_load_dwordx4 v[4:7], v[4:5], off offset:768
	s_clause 0x1
	buffer_load_dword v8, off, s[36:39], 0 offset:60
	buffer_load_dword v9, off, s[36:39], 0 offset:64
	s_waitcnt vmcnt(0)
	global_load_dwordx4 v[8:11], v[8:9], off offset:1984
	global_load_dwordx4 v[12:15], v[12:13], off
	v_mul_f64 v[16:17], v[2:3], v[6:7]
	v_mul_f64 v[6:7], v[0:1], v[6:7]
	v_fma_f64 v[0:1], v[0:1], v[4:5], v[16:17]
	v_fma_f64 v[2:3], v[2:3], v[4:5], -v[6:7]
	s_waitcnt vmcnt(0)
	v_mul_f64 v[18:19], v[14:15], v[10:11]
	v_mul_f64 v[10:11], v[12:13], v[10:11]
	v_fma_f64 v[4:5], v[12:13], v[8:9], v[18:19]
	v_fma_f64 v[6:7], v[14:15], v[8:9], -v[10:11]
	ds_write_b128 v176, v[0:3] offset:8960
	ds_write_b128 v176, v[4:7] offset:18368
.LBB0_3:
	s_or_b32 exec_lo, exec_lo, s2
	s_waitcnt lgkmcnt(0)
	s_waitcnt_vscnt null, 0x0
	s_barrier
	buffer_gl0_inv
	ds_read_b128 v[0:3], v176
	ds_read_b128 v[4:7], v176 offset:896
	ds_read_b128 v[60:63], v176 offset:9408
	;; [unrolled: 1-line block ×19, first 2 shown]
                                        ; implicit-def: $vgpr92_vgpr93
                                        ; implicit-def: $vgpr88_vgpr89
	s_and_saveexec_b32 s0, vcc_lo
	s_cbranch_execz .LBB0_5
; %bb.4:
	ds_read_b128 v[92:95], v176 offset:8960
	ds_read_b128 v[88:91], v176 offset:18368
.LBB0_5:
	s_or_b32 exec_lo, exec_lo, s0
	s_waitcnt lgkmcnt(17)
	v_add_f64 v[60:61], v[0:1], -v[60:61]
	v_add_f64 v[62:63], v[2:3], -v[62:63]
	s_waitcnt lgkmcnt(16)
	v_add_f64 v[56:57], v[4:5], -v[56:57]
	v_add_f64 v[58:59], v[6:7], -v[58:59]
	;; [unrolled: 3-line block ×8, first 2 shown]
	v_add_f64 v[72:73], v[28:29], -v[100:101]
	v_add_f64 v[74:75], v[30:31], -v[102:103]
	;; [unrolled: 1-line block ×6, first 2 shown]
	v_fma_f64 v[0:1], v[0:1], 2.0, -v[60:61]
	v_fma_f64 v[2:3], v[2:3], 2.0, -v[62:63]
	;; [unrolled: 1-line block ×14, first 2 shown]
	v_add_co_u32 v65, s2, v178, 56
	v_add_co_ci_u32_e64 v64, null, 0, 0, s2
	v_add_co_u32 v64, s2, 0x70, v178
	v_add_co_ci_u32_e64 v66, null, 0, 0, s2
	v_add_co_u32 v69, null, 0xa8, v178
	v_add_co_u32 v66, null, 0xe0, v178
	v_fma_f64 v[96:97], v[84:85], 2.0, -v[32:33]
	v_fma_f64 v[84:85], v[92:93], 2.0, -v[88:89]
	v_lshlrev_b32_e32 v92, 5, v178
	v_lshlrev_b32_e32 v93, 5, v65
	v_fma_f64 v[28:29], v[28:29], 2.0, -v[72:73]
	v_fma_f64 v[30:31], v[30:31], 2.0, -v[74:75]
	v_fma_f64 v[80:81], v[80:81], 2.0, -v[76:77]
	v_fma_f64 v[82:83], v[82:83], 2.0, -v[78:79]
	v_fma_f64 v[98:99], v[86:87], 2.0, -v[34:35]
	v_fma_f64 v[86:87], v[94:95], 2.0, -v[90:91]
	s_load_dwordx2 s[0:1], s[4:5], 0x8
	v_add_co_u32 v67, null, 0x118, v178
	v_add_co_u32 v68, null, 0x150, v178
	v_lshlrev_b32_e32 v70, 1, v178
	s_waitcnt lgkmcnt(0)
	s_barrier
	buffer_gl0_inv
	ds_write_b128 v92, v[0:3]
	ds_write_b128 v92, v[60:63] offset:16
	v_lshlrev_b32_e32 v2, 5, v64
	ds_write_b128 v93, v[4:7]
	v_lshlrev_b32_e32 v3, 5, v69
	v_lshlrev_b32_e32 v5, 5, v66
	ds_write_b128 v93, v[56:59] offset:16
	ds_write_b128 v2, v[8:11]
	ds_write_b128 v2, v[52:55] offset:16
	ds_write_b128 v3, v[12:15]
	ds_write_b128 v3, v[48:51] offset:16
	v_lshlrev_b32_e32 v6, 5, v67
	ds_write_b128 v5, v[16:19]
	buffer_store_dword v5, off, s[36:39], 0 offset:392 ; 4-byte Folded Spill
	ds_write_b128 v5, v[44:47] offset:16
	v_lshlrev_b32_e32 v7, 5, v68
	v_add_nc_u32_e32 v5, 0x310, v70
	v_add_co_u32 v71, null, 0x230, v178
	ds_write_b128 v6, v[20:23]
	ds_write_b128 v6, v[40:43] offset:16
	ds_write_b128 v7, v[24:27]
	v_lshlrev_b32_e32 v10, 4, v5
	buffer_store_dword v7, off, s[36:39], 0 offset:400 ; 4-byte Folded Spill
	ds_write_b128 v7, v[36:39] offset:16
	v_add_nc_u32_e32 v7, 0x3f0, v70
	v_or_b32_e32 v8, 0x1c0, v178
	v_lshlrev_b32_e32 v0, 1, v65
	v_lshlrev_b32_e32 v1, 1, v64
	buffer_store_dword v2, off, s[36:39], 0 offset:384 ; 4-byte Folded Spill
	v_lshlrev_b32_e32 v2, 1, v69
	buffer_store_dword v3, off, s[36:39], 0 offset:388 ; 4-byte Folded Spill
	v_lshlrev_b32_e32 v4, 1, v66
	v_lshlrev_b32_e32 v3, 1, v67
	buffer_store_dword v6, off, s[36:39], 0 offset:396 ; 4-byte Folded Spill
	v_lshlrev_b32_e32 v6, 1, v68
	v_lshlrev_b32_e32 v9, 4, v70
	;; [unrolled: 1-line block ×3, first 2 shown]
	buffer_store_dword v10, off, s[36:39], 0 offset:404 ; 4-byte Folded Spill
	ds_write_b128 v10, v[72:75] offset:16
	v_lshlrev_b32_e32 v8, 1, v8
	v_lshlrev_b32_e32 v11, 4, v7
	;; [unrolled: 1-line block ×3, first 2 shown]
	buffer_store_dword v92, off, s[36:39], 0 offset:376 ; 4-byte Folded Spill
	buffer_store_dword v93, off, s[36:39], 0 offset:380 ; 4-byte Folded Spill
	ds_write_b128 v9, v[28:31] offset:12544
	ds_write_b128 v12, v[80:83]
	buffer_store_dword v10, off, s[36:39], 0 offset:724 ; 4-byte Folded Spill
	buffer_store_dword v12, off, s[36:39], 0 offset:412 ; 4-byte Folded Spill
	ds_write_b128 v12, v[76:79] offset:16
	ds_write_b128 v9, v[96:99] offset:16128
	buffer_store_dword v11, off, s[36:39], 0 offset:408 ; 4-byte Folded Spill
	ds_write_b128 v11, v[32:35] offset:16
	s_and_saveexec_b32 s2, vcc_lo
	s_cbranch_execz .LBB0_7
; %bb.6:
	v_lshlrev_b32_e32 v9, 5, v71
	ds_write_b128 v9, v[84:87]
	ds_write_b128 v9, v[88:91] offset:16
.LBB0_7:
	s_or_b32 exec_lo, exec_lo, s2
	s_waitcnt lgkmcnt(0)
	s_waitcnt_vscnt null, 0x0
	s_barrier
	buffer_gl0_inv
	ds_read_b128 v[96:99], v176
	ds_read_b128 v[100:103], v176 offset:896
	ds_read_b128 v[168:171], v176 offset:9408
	;; [unrolled: 1-line block ×19, first 2 shown]
	s_and_saveexec_b32 s2, vcc_lo
	s_cbranch_execz .LBB0_9
; %bb.8:
	ds_read_b128 v[84:87], v176 offset:8960
	ds_read_b128 v[88:91], v176 offset:18368
.LBB0_9:
	s_or_b32 exec_lo, exec_lo, s2
	v_and_b32_e32 v62, 1, v178
	v_lshlrev_b32_e32 v45, 1, v71
	v_lshlrev_b32_e32 v9, 4, v62
	buffer_store_dword v45, off, s[36:39], 0 offset:4 ; 4-byte Folded Spill
	v_and_or_b32 v53, 0x7c, v70, v62
	v_and_or_b32 v54, 0xfc, v0, v62
	;; [unrolled: 1-line block ×3, first 2 shown]
	global_load_dwordx4 v[80:83], v9, s[0:1]
	v_and_or_b32 v56, 0x1fc, v2, v62
	v_and_or_b32 v57, 0x3fc, v4, v62
	;; [unrolled: 1-line block ×6, first 2 shown]
	buffer_store_dword v62, off, s[36:39], 0 offset:716 ; 4-byte Folded Spill
	v_and_or_b32 v62, 0x7fc, v7, v62
	v_lshlrev_b32_e32 v79, 4, v59
	v_lshlrev_b32_e32 v63, 4, v60
	;; [unrolled: 1-line block ×3, first 2 shown]
	s_waitcnt vmcnt(0) lgkmcnt(0)
	s_waitcnt_vscnt null, 0x0
	v_lshlrev_b32_e32 v62, 4, v62
	s_barrier
	buffer_gl0_inv
	v_mul_f64 v[9:10], v[170:171], v[82:83]
	v_mul_f64 v[11:12], v[168:169], v[82:83]
	;; [unrolled: 1-line block ×22, first 2 shown]
	v_fma_f64 v[9:10], v[168:169], v[80:81], -v[9:10]
	v_fma_f64 v[11:12], v[170:171], v[80:81], v[11:12]
	v_fma_f64 v[49:50], v[88:89], v[80:81], -v[49:50]
	v_fma_f64 v[51:52], v[90:91], v[80:81], v[51:52]
	v_fma_f64 v[13:14], v[164:165], v[80:81], -v[13:14]
	v_fma_f64 v[15:16], v[166:167], v[80:81], v[15:16]
	v_fma_f64 v[17:18], v[160:161], v[80:81], -v[17:18]
	v_fma_f64 v[19:20], v[162:163], v[80:81], v[19:20]
	v_fma_f64 v[21:22], v[156:157], v[80:81], -v[21:22]
	v_fma_f64 v[23:24], v[158:159], v[80:81], v[23:24]
	v_fma_f64 v[25:26], v[152:153], v[80:81], -v[25:26]
	v_fma_f64 v[27:28], v[154:155], v[80:81], v[27:28]
	v_fma_f64 v[29:30], v[148:149], v[80:81], -v[29:30]
	v_fma_f64 v[31:32], v[150:151], v[80:81], v[31:32]
	v_fma_f64 v[33:34], v[144:145], v[80:81], -v[33:34]
	v_fma_f64 v[35:36], v[146:147], v[80:81], v[35:36]
	v_fma_f64 v[37:38], v[140:141], v[80:81], -v[37:38]
	v_fma_f64 v[39:40], v[142:143], v[80:81], v[39:40]
	v_fma_f64 v[41:42], v[136:137], v[80:81], -v[41:42]
	v_fma_f64 v[43:44], v[138:139], v[80:81], v[43:44]
	v_fma_f64 v[45:46], v[92:93], v[80:81], -v[45:46]
	v_fma_f64 v[47:48], v[94:95], v[80:81], v[47:48]
	v_add_f64 v[9:10], v[96:97], -v[9:10]
	v_add_f64 v[11:12], v[98:99], -v[11:12]
	;; [unrolled: 1-line block ×22, first 2 shown]
	v_fma_f64 v[49:50], v[96:97], 2.0, -v[9:10]
	v_fma_f64 v[51:52], v[98:99], 2.0, -v[11:12]
	;; [unrolled: 1-line block ×4, first 2 shown]
	v_lshlrev_b32_e32 v141, 4, v53
	v_lshlrev_b32_e32 v140, 4, v54
	;; [unrolled: 1-line block ×6, first 2 shown]
	v_fma_f64 v[53:54], v[100:101], 2.0, -v[13:14]
	v_fma_f64 v[55:56], v[102:103], 2.0, -v[15:16]
	;; [unrolled: 1-line block ×18, first 2 shown]
	ds_write_b128 v141, v[9:12] offset:32
	buffer_store_dword v141, off, s[36:39], 0 offset:452 ; 4-byte Folded Spill
	ds_write_b128 v141, v[49:52]
	ds_write_b128 v140, v[53:56]
	buffer_store_dword v140, off, s[36:39], 0 offset:448 ; 4-byte Folded Spill
	ds_write_b128 v140, v[13:16] offset:32
	ds_write_b128 v139, v[57:60]
	buffer_store_dword v139, off, s[36:39], 0 offset:444 ; 4-byte Folded Spill
	ds_write_b128 v139, v[17:20] offset:32
	;; [unrolled: 3-line block ×9, first 2 shown]
	s_and_saveexec_b32 s2, vcc_lo
	s_cbranch_execz .LBB0_11
; %bb.10:
	buffer_load_dword v9, off, s[36:39], 0 offset:4 ; 4-byte Folded Reload
	v_and_b32_e32 v10, 1, v178
	s_waitcnt vmcnt(0)
	v_and_or_b32 v9, 0x4fc, v9, v10
	v_lshlrev_b32_e32 v9, 4, v9
	ds_write_b128 v9, v[88:91]
	ds_write_b128 v9, v[92:95] offset:32
.LBB0_11:
	s_or_b32 exec_lo, exec_lo, s2
	s_waitcnt lgkmcnt(0)
	s_waitcnt_vscnt null, 0x0
	s_barrier
	buffer_gl0_inv
	ds_read_b128 v[96:99], v176
	ds_read_b128 v[100:103], v176 offset:896
	ds_read_b128 v[172:175], v176 offset:9408
	;; [unrolled: 1-line block ×19, first 2 shown]
	s_and_saveexec_b32 s2, vcc_lo
	s_cbranch_execz .LBB0_13
; %bb.12:
	ds_read_b128 v[88:91], v176 offset:8960
	ds_read_b128 v[92:95], v176 offset:18368
.LBB0_13:
	s_or_b32 exec_lo, exec_lo, s2
	v_and_b32_e32 v25, 3, v178
	v_lshlrev_b32_e32 v9, 4, v25
	v_and_or_b32 v42, 0xf8, v0, v25
	v_and_or_b32 v43, 0x1f8, v1, v25
	;; [unrolled: 1-line block ×4, first 2 shown]
	global_load_dwordx4 v[84:87], v9, s[0:1] offset:32
	v_and_or_b32 v41, 0x78, v70, v25
	v_and_or_b32 v45, 0x3f8, v4, v25
	;; [unrolled: 1-line block ×5, first 2 shown]
	buffer_store_dword v25, off, s[36:39], 0 offset:720 ; 4-byte Folded Spill
	v_and_or_b32 v177, 0x7f8, v7, v25
	s_waitcnt vmcnt(0) lgkmcnt(0)
	s_waitcnt_vscnt null, 0x0
	s_barrier
	buffer_gl0_inv
	v_mul_f64 v[9:10], v[174:175], v[86:87]
	v_mul_f64 v[11:12], v[172:173], v[86:87]
	;; [unrolled: 1-line block ×17, first 2 shown]
	v_fma_f64 v[4:5], v[172:173], v[84:85], -v[9:10]
	v_fma_f64 v[6:7], v[174:175], v[84:85], v[11:12]
	v_mul_f64 v[8:9], v[138:139], v[86:87]
	v_mul_f64 v[10:11], v[136:137], v[86:87]
	v_fma_f64 v[33:34], v[156:157], v[84:85], -v[0:1]
	v_mul_f64 v[0:1], v[154:155], v[86:87]
	v_fma_f64 v[37:38], v[160:161], v[84:85], -v[2:3]
	;; [unrolled: 2-line block ×3, first 2 shown]
	v_fma_f64 v[14:15], v[166:167], v[84:85], v[15:16]
	v_lshlrev_b32_e32 v156, 4, v49
	v_mul_f64 v[49:50], v[94:95], v[86:87]
	v_fma_f64 v[16:17], v[168:169], v[84:85], -v[17:18]
	v_fma_f64 v[18:19], v[170:171], v[84:85], v[19:20]
	v_fma_f64 v[20:21], v[158:159], v[84:85], v[21:22]
	;; [unrolled: 1-line block ×3, first 2 shown]
	v_lshlrev_b32_e32 v164, 4, v41
	v_lshlrev_b32_e32 v163, 4, v42
	;; [unrolled: 1-line block ×8, first 2 shown]
	v_fma_f64 v[41:42], v[136:137], v[84:85], -v[8:9]
	v_fma_f64 v[43:44], v[138:139], v[84:85], v[10:11]
	v_fma_f64 v[24:25], v[144:145], v[84:85], -v[25:26]
	v_fma_f64 v[26:27], v[146:147], v[84:85], v[27:28]
	;; [unrolled: 2-line block ×5, first 2 shown]
	v_add_f64 v[0:1], v[96:97], -v[4:5]
	v_add_f64 v[2:3], v[98:99], -v[6:7]
	;; [unrolled: 1-line block ×4, first 2 shown]
	v_fma_f64 v[78:79], v[92:93], v[84:85], -v[49:50]
	v_fma_f64 v[136:137], v[94:95], v[84:85], v[51:52]
	v_add_f64 v[8:9], v[104:105], -v[16:17]
	v_add_f64 v[10:11], v[106:107], -v[18:19]
	;; [unrolled: 1-line block ×16, first 2 shown]
	v_fma_f64 v[40:41], v[96:97], 2.0, -v[0:1]
	v_fma_f64 v[42:43], v[98:99], 2.0, -v[2:3]
	;; [unrolled: 1-line block ×4, first 2 shown]
	v_add_f64 v[100:101], v[88:89], -v[78:79]
	v_add_f64 v[102:103], v[90:91], -v[136:137]
	v_fma_f64 v[48:49], v[104:105], 2.0, -v[8:9]
	v_fma_f64 v[50:51], v[106:107], 2.0, -v[10:11]
	;; [unrolled: 1-line block ×16, first 2 shown]
	v_lshlrev_b32_e32 v78, 4, v177
	buffer_store_dword v100, off, s[36:39], 0 offset:8 ; 4-byte Folded Spill
	buffer_store_dword v101, off, s[36:39], 0 offset:12 ; 4-byte Folded Spill
	;; [unrolled: 1-line block ×4, first 2 shown]
	ds_write_b128 v164, v[0:3] offset:64
	buffer_store_dword v164, off, s[36:39], 0 offset:540 ; 4-byte Folded Spill
	ds_write_b128 v164, v[40:43]
	ds_write_b128 v163, v[44:47]
	buffer_store_dword v163, off, s[36:39], 0 offset:536 ; 4-byte Folded Spill
	ds_write_b128 v163, v[4:7] offset:64
	ds_write_b128 v162, v[48:51]
	buffer_store_dword v162, off, s[36:39], 0 offset:532 ; 4-byte Folded Spill
	ds_write_b128 v162, v[8:11] offset:64
	;; [unrolled: 3-line block ×9, first 2 shown]
	s_and_saveexec_b32 s2, vcc_lo
	s_cbranch_execz .LBB0_15
; %bb.14:
	s_clause 0x4
	buffer_load_dword v6, off, s[36:39], 0 offset:8
	buffer_load_dword v7, off, s[36:39], 0 offset:12
	;; [unrolled: 1-line block ×5, first 2 shown]
	v_and_b32_e32 v5, 3, v178
	s_waitcnt vmcnt(1)
	v_fma_f64 v[2:3], v[90:91], 2.0, -v[8:9]
	v_fma_f64 v[0:1], v[88:89], 2.0, -v[6:7]
	s_waitcnt vmcnt(0)
	v_and_or_b32 v4, 0x4f8, v4, v5
	v_lshlrev_b32_e32 v4, 4, v4
	ds_write_b128 v4, v[0:3]
	ds_write_b128 v4, v[6:9] offset:64
.LBB0_15:
	s_or_b32 exec_lo, exec_lo, s2
	v_and_b32_e32 v0, 7, v178
	s_waitcnt lgkmcnt(0)
	s_waitcnt_vscnt null, 0x0
	s_barrier
	buffer_gl0_inv
	v_lshrrev_b32_e32 v130, 3, v66
	v_lshlrev_b32_e32 v1, 5, v0
	v_lshrrev_b32_e32 v131, 3, v67
	v_lshrrev_b32_e32 v132, 3, v68
	;; [unrolled: 1-line block ×4, first 2 shown]
	s_clause 0x1
	global_load_dwordx4 v[92:95], v1, s[0:1] offset:96
	global_load_dwordx4 v[88:91], v1, s[0:1] offset:112
	ds_read_b128 v[108:111], v176 offset:6272
	ds_read_b128 v[104:107], v176 offset:12544
	;; [unrolled: 1-line block ×15, first 2 shown]
	ds_read_b128 v[45:48], v176
	ds_read_b128 v[49:52], v176 offset:896
	v_mul_u32_u24_e32 v63, 24, v63
	ds_read_b128 v[53:56], v176 offset:1792
	ds_read_b128 v[57:60], v176 offset:2688
	;; [unrolled: 1-line block ×4, first 2 shown]
	v_and_b32_e32 v129, 0xff, v178
	v_mul_u32_u24_e32 v135, 24, v130
	v_mul_u32_u24_e32 v136, 24, v132
	s_mov_b32 s2, 0xe8584caa
	s_mov_b32 s3, 0x3febb67a
	v_mul_lo_u16 v134, 0xab, v129
	v_or_b32_e32 v138, v135, v0
	s_mov_b32 s5, 0xbfebb67a
	s_mov_b32 s4, s2
	s_waitcnt vmcnt(0) lgkmcnt(0)
	s_barrier
	v_lshlrev_b32_e32 v138, 4, v138
	buffer_gl0_inv
	s_mov_b32 s16, 0x429ad128
	s_mov_b32 s24, 0x37e14327
	;; [unrolled: 1-line block ×16, first 2 shown]
	v_mul_f64 v[61:62], v[110:111], v[94:95]
	v_mul_f64 v[78:79], v[108:109], v[94:95]
	;; [unrolled: 1-line block ×11, first 2 shown]
	v_fma_f64 v[61:62], v[108:109], v[92:93], -v[61:62]
	v_fma_f64 v[78:79], v[110:111], v[92:93], v[78:79]
	v_mul_f64 v[108:109], v[7:8], v[90:91]
	v_mul_f64 v[110:111], v[5:6], v[90:91]
	v_fma_f64 v[104:105], v[104:105], v[88:89], -v[112:113]
	v_fma_f64 v[106:107], v[106:107], v[88:89], v[114:115]
	v_mul_f64 v[112:113], v[15:16], v[94:95]
	v_mul_f64 v[114:115], v[13:14], v[94:95]
	;; [unrolled: 4-line block ×3, first 2 shown]
	v_fma_f64 v[98:99], v[98:99], v[88:89], v[122:123]
	v_lshrrev_b32_e32 v123, 3, v69
	v_fma_f64 v[68:69], v[1:2], v[92:93], -v[124:125]
	v_mul_f64 v[1:2], v[17:18], v[94:95]
	v_fma_f64 v[96:97], v[96:97], v[88:89], -v[120:121]
	v_fma_f64 v[120:121], v[3:4], v[92:93], v[126:127]
	v_mul_f64 v[3:4], v[23:24], v[90:91]
	v_fma_f64 v[66:67], v[17:18], v[92:93], -v[66:67]
	v_lshrrev_b32_e32 v122, 3, v64
	v_mul_u32_u24_e32 v124, 24, v128
	v_mul_u32_u24_e32 v133, 24, v123
	v_fma_f64 v[108:109], v[5:6], v[88:89], -v[108:109]
	v_fma_f64 v[110:111], v[7:8], v[88:89], v[110:111]
	v_mul_f64 v[5:6], v[21:22], v[90:91]
	v_mul_f64 v[7:8], v[31:32], v[94:95]
	v_fma_f64 v[112:113], v[13:14], v[92:93], -v[112:113]
	v_fma_f64 v[114:115], v[15:16], v[92:93], v[114:115]
	v_mul_f64 v[13:14], v[29:30], v[94:95]
	v_mul_f64 v[15:16], v[27:28], v[90:91]
	;; [unrolled: 4-line block ×3, first 2 shown]
	v_mul_u32_u24_e32 v125, 24, v122
	v_fma_f64 v[17:18], v[19:20], v[92:93], v[1:2]
	v_mul_f64 v[19:20], v[43:44], v[90:91]
	v_mul_f64 v[1:2], v[33:34], v[94:95]
	v_fma_f64 v[122:123], v[21:22], v[88:89], -v[3:4]
	v_mul_f64 v[3:4], v[41:42], v[90:91]
	v_or_b32_e32 v137, v125, v0
	v_add_f64 v[126:127], v[68:69], v[108:109]
	v_add_f64 v[128:129], v[120:121], v[110:111]
	v_fma_f64 v[21:22], v[23:24], v[88:89], v[5:6]
	v_fma_f64 v[29:30], v[29:30], v[92:93], -v[7:8]
	v_add_f64 v[5:6], v[61:62], v[104:105]
	v_add_f64 v[7:8], v[78:79], v[106:107]
	v_fma_f64 v[31:32], v[31:32], v[92:93], v[13:14]
	v_fma_f64 v[24:25], v[25:26], v[88:89], -v[15:16]
	v_add_f64 v[13:14], v[45:46], v[61:62]
	v_mul_u32_u24_e32 v23, 24, v131
	v_fma_f64 v[26:27], v[27:28], v[88:89], v[9:10]
	v_add_f64 v[9:10], v[47:48], v[78:79]
	v_or_b32_e32 v28, v63, v0
	v_or_b32_e32 v63, v124, v0
	v_fma_f64 v[33:34], v[33:34], v[92:93], -v[11:12]
	v_fma_f64 v[41:42], v[41:42], v[88:89], -v[19:20]
	v_add_f64 v[11:12], v[100:101], v[96:97]
	v_add_f64 v[19:20], v[51:52], v[102:103]
	;; [unrolled: 1-line block ×3, first 2 shown]
	v_fma_f64 v[35:36], v[35:36], v[92:93], v[1:2]
	v_add_f64 v[15:16], v[102:103], v[98:99]
	v_fma_f64 v[43:44], v[43:44], v[88:89], v[3:4]
	v_add_f64 v[78:79], v[78:79], -v[106:107]
	v_add_f64 v[130:131], v[55:56], v[120:121]
	v_add_f64 v[61:62], v[61:62], -v[104:105]
	v_add_f64 v[102:103], v[102:103], -v[98:99]
	v_fma_f64 v[45:46], v[5:6], -0.5, v[45:46]
	v_fma_f64 v[47:48], v[7:8], -0.5, v[47:48]
	v_add_f64 v[100:101], v[100:101], -v[96:97]
	v_or_b32_e32 v3, v133, v0
	v_add_f64 v[4:5], v[13:14], v[104:105]
	v_add_f64 v[104:105], v[120:121], -v[110:111]
	v_add_f64 v[120:121], v[112:113], v[116:117]
	v_add_f64 v[6:7], v[9:10], v[106:107]
	;; [unrolled: 1-line block ×3, first 2 shown]
	v_lshrrev_b16 v2, 12, v134
	v_add_f64 v[132:133], v[114:115], v[118:119]
	v_add_f64 v[134:135], v[59:60], v[114:115]
	v_fma_f64 v[49:50], v[11:12], -0.5, v[49:50]
	v_add_f64 v[10:11], v[19:20], v[98:99]
	v_add_f64 v[8:9], v[124:125], v[96:97]
	;; [unrolled: 1-line block ×4, first 2 shown]
	v_fma_f64 v[51:52], v[15:16], -0.5, v[51:52]
	v_fma_f64 v[53:54], v[126:127], -0.5, v[53:54]
	;; [unrolled: 1-line block ×3, first 2 shown]
	v_add_f64 v[124:125], v[17:18], v[21:22]
	v_add_f64 v[126:127], v[72:73], v[17:18]
	;; [unrolled: 1-line block ×3, first 2 shown]
	v_or_b32_e32 v128, v23, v0
	v_or_b32_e32 v129, v136, v0
	v_add_f64 v[0:1], v[68:69], -v[108:109]
	v_add_f64 v[68:69], v[114:115], -v[118:119]
	;; [unrolled: 1-line block ×3, first 2 shown]
	v_fma_f64 v[114:115], v[120:121], -0.5, v[57:58]
	v_add_f64 v[57:58], v[31:32], v[26:27]
	v_add_f64 v[12:13], v[106:107], v[108:109]
	;; [unrolled: 1-line block ×3, first 2 shown]
	v_add_f64 v[108:109], v[112:113], -v[116:117]
	v_add_f64 v[112:113], v[29:30], v[24:25]
	v_mul_lo_u16 v130, v2, 24
	v_fma_f64 v[120:121], v[132:133], -0.5, v[59:60]
	v_add_f64 v[59:60], v[76:77], v[31:32]
	v_add_f64 v[16:17], v[96:97], v[116:117]
	;; [unrolled: 1-line block ×3, first 2 shown]
	v_fma_f64 v[70:71], v[98:99], -0.5, v[70:71]
	v_add_f64 v[98:99], v[35:36], v[43:44]
	v_add_f64 v[18:19], v[134:135], v[118:119]
	;; [unrolled: 1-line block ×3, first 2 shown]
	v_fma_f64 v[72:73], v[124:125], -0.5, v[72:73]
	v_add_f64 v[118:119], v[39:40], v[35:36]
	v_add_f64 v[22:23], v[126:127], v[21:22]
	v_lshlrev_b32_e32 v142, 4, v28
	v_lshlrev_b32_e32 v140, 4, v137
	v_sub_nc_u16 v28, v178, v130
	v_lshlrev_b32_e32 v137, 4, v128
	v_lshlrev_b32_e32 v136, 4, v129
	v_add_f64 v[124:125], v[31:32], -v[26:27]
	v_add_f64 v[126:127], v[29:30], -v[24:25]
	v_add_f64 v[20:21], v[106:107], v[122:123]
	v_add_f64 v[106:107], v[37:38], v[33:34]
	v_add_f64 v[122:123], v[66:67], -v[122:123]
	v_add_f64 v[128:129], v[35:36], -v[43:44]
	;; [unrolled: 1-line block ×3, first 2 shown]
	v_fma_f64 v[112:113], v[112:113], -0.5, v[74:75]
	v_fma_f64 v[132:133], v[57:58], -0.5, v[76:77]
	;; [unrolled: 1-line block ×3, first 2 shown]
	v_lshlrev_b32_e32 v141, 4, v63
	v_fma_f64 v[134:135], v[98:99], -0.5, v[39:40]
	v_lshlrev_b32_e32 v139, 4, v3
	v_and_b32_e32 v3, 0xff, v28
	v_add_f64 v[26:27], v[59:60], v[26:27]
	v_add_f64 v[24:25], v[96:97], v[24:25]
	;; [unrolled: 1-line block ×3, first 2 shown]
	v_fma_f64 v[32:33], v[78:79], s[2:3], v[45:46]
	v_fma_f64 v[36:37], v[78:79], s[4:5], v[45:46]
	v_fma_f64 v[34:35], v[61:62], s[4:5], v[47:48]
	v_fma_f64 v[38:39], v[61:62], s[2:3], v[47:48]
	v_fma_f64 v[44:45], v[102:103], s[4:5], v[49:50]
	v_fma_f64 v[46:47], v[100:101], s[2:3], v[51:52]
	v_fma_f64 v[60:61], v[68:69], s[4:5], v[114:115]
	v_fma_f64 v[62:63], v[108:109], s[2:3], v[120:121]
	v_add_f64 v[28:29], v[106:107], v[41:42]
	v_fma_f64 v[40:41], v[102:103], s[2:3], v[49:50]
	v_fma_f64 v[42:43], v[100:101], s[4:5], v[51:52]
	;; [unrolled: 1-line block ×20, first 2 shown]
	v_mad_u64_u32 v[0:1], null, 0x60, v3, s[0:1]
	ds_write_b128 v142, v[4:7]
	ds_write_b128 v142, v[32:35] offset:128
	buffer_store_dword v142, off, s[36:39], 0 offset:696 ; 4-byte Folded Spill
	ds_write_b128 v142, v[36:39] offset:256
	ds_write_b128 v141, v[8:11]
	ds_write_b128 v141, v[40:43] offset:128
	buffer_store_dword v141, off, s[36:39], 0 offset:692 ; 4-byte Folded Spill
	ds_write_b128 v141, v[44:47] offset:256
	;; [unrolled: 4-line block ×7, first 2 shown]
	s_waitcnt lgkmcnt(0)
	s_waitcnt_vscnt null, 0x0
	s_barrier
	buffer_gl0_inv
	s_clause 0x2
	global_load_dwordx4 v[75:78], v[0:1], off offset:352
	global_load_dwordx4 v[100:103], v[0:1], off offset:368
	;; [unrolled: 1-line block ×3, first 2 shown]
	v_and_b32_e32 v4, 0xff, v65
	s_clause 0x2
	global_load_dwordx4 v[120:123], v[0:1], off offset:400
	global_load_dwordx4 v[116:119], v[0:1], off offset:416
	;; [unrolled: 1-line block ×3, first 2 shown]
	v_and_b32_e32 v1, 0xff, v64
	s_mov_b32 s2, 0xaaaaaaaa
	v_mul_lo_u16 v4, 0xab, v4
	s_mov_b32 s3, 0xbff2aaaa
	s_mov_b32 s4, 0x36b3c0b5
	v_mul_lo_u16 v1, 0xab, v1
	s_mov_b32 s5, 0x3fac98ee
	v_lshrrev_b16 v4, 12, v4
	v_lshrrev_b16 v79, 12, v1
	v_mul_lo_u16 v5, v4, 24
	v_mul_lo_u16 v1, v79, 24
	v_sub_nc_u16 v0, v65, v5
	v_sub_nc_u16 v1, v64, v1
	v_and_b32_e32 v0, 0xff, v0
	v_mad_u64_u32 v[53:54], null, 0x60, v0, s[0:1]
	s_clause 0x1
	global_load_dwordx4 v[104:107], v[53:54], off offset:352
	global_load_dwordx4 v[112:115], v[53:54], off offset:368
	ds_read_b128 v[5:8], v176 offset:2688
	ds_read_b128 v[9:12], v176 offset:5376
	;; [unrolled: 1-line block ×12, first 2 shown]
	s_waitcnt vmcnt(7) lgkmcnt(11)
	v_mul_f64 v[55:56], v[7:8], v[77:78]
	s_waitcnt vmcnt(6) lgkmcnt(10)
	v_mul_f64 v[59:60], v[11:12], v[102:103]
	v_mul_f64 v[57:58], v[5:6], v[77:78]
	;; [unrolled: 1-line block ×3, first 2 shown]
	s_waitcnt vmcnt(5) lgkmcnt(9)
	v_mul_f64 v[65:66], v[15:16], v[98:99]
	s_waitcnt vmcnt(4) lgkmcnt(8)
	v_mul_f64 v[69:70], v[19:20], v[122:123]
	;; [unrolled: 2-line block ×3, first 2 shown]
	v_mul_f64 v[67:68], v[13:14], v[98:99]
	v_mul_f64 v[71:72], v[17:18], v[122:123]
	v_fma_f64 v[55:56], v[5:6], v[75:76], -v[55:56]
	buffer_store_dword v75, off, s[36:39], 0 offset:488 ; 4-byte Folded Spill
	buffer_store_dword v76, off, s[36:39], 0 offset:492 ; 4-byte Folded Spill
	;; [unrolled: 1-line block ×4, first 2 shown]
	v_fma_f64 v[59:60], v[9:10], v[100:101], -v[59:60]
	buffer_store_dword v100, off, s[36:39], 0 offset:472 ; 4-byte Folded Spill
	buffer_store_dword v101, off, s[36:39], 0 offset:476 ; 4-byte Folded Spill
	;; [unrolled: 1-line block ×4, first 2 shown]
	s_waitcnt vmcnt(2) lgkmcnt(5)
	v_mul_f64 v[77:78], v[31:32], v[110:111]
	v_fma_f64 v[65:66], v[13:14], v[96:97], -v[65:66]
	v_fma_f64 v[69:70], v[17:18], v[120:121], -v[69:70]
	v_mul_f64 v[13:14], v[29:30], v[110:111]
	v_fma_f64 v[29:30], v[29:30], v[108:109], -v[77:78]
	v_fma_f64 v[57:58], v[7:8], v[75:76], v[57:58]
	ds_read_b128 v[5:8], v176 offset:3584
	buffer_store_dword v96, off, s[36:39], 0 offset:456 ; 4-byte Folded Spill
	buffer_store_dword v97, off, s[36:39], 0 offset:460 ; 4-byte Folded Spill
	;; [unrolled: 1-line block ×8, first 2 shown]
	v_mul_f64 v[75:76], v[21:22], v[118:119]
	v_fma_f64 v[61:62], v[11:12], v[100:101], v[61:62]
	ds_read_b128 v[9:12], v176 offset:4480
	v_fma_f64 v[21:22], v[21:22], v[116:117], -v[73:74]
	buffer_store_dword v116, off, s[36:39], 0 offset:652 ; 4-byte Folded Spill
	buffer_store_dword v117, off, s[36:39], 0 offset:656 ; 4-byte Folded Spill
	;; [unrolled: 1-line block ×8, first 2 shown]
	global_load_dwordx4 v[200:203], v[53:54], off offset:384
	s_waitcnt vmcnt(2) lgkmcnt(1)
	v_mul_f64 v[17:18], v[5:6], v[106:107]
	v_fma_f64 v[67:68], v[15:16], v[96:97], v[67:68]
	v_mul_f64 v[15:16], v[7:8], v[106:107]
	v_fma_f64 v[71:72], v[19:20], v[120:121], v[71:72]
	v_and_b32_e32 v120, 0xff, v1
	v_mov_b32_e32 v121, 0xa8
	v_fma_f64 v[23:24], v[23:24], v[116:117], v[75:76]
	v_fma_f64 v[31:32], v[31:32], v[108:109], v[13:14]
	s_waitcnt vmcnt(1)
	v_mul_f64 v[13:14], v[35:36], v[114:115]
	v_mul_u32_u24_sdwa v1, v2, v121 dst_sel:DWORD dst_unused:UNUSED_PAD src0_sel:WORD_0 src1_sel:DWORD
	v_add_lshl_u32 v3, v1, v3, 4
	v_fma_f64 v[73:74], v[5:6], v[104:105], -v[15:16]
	buffer_store_dword v104, off, s[36:39], 0 offset:604 ; 4-byte Folded Spill
	buffer_store_dword v105, off, s[36:39], 0 offset:608 ; 4-byte Folded Spill
	;; [unrolled: 1-line block ×4, first 2 shown]
	v_mul_f64 v[5:6], v[33:34], v[114:115]
	v_fma_f64 v[77:78], v[33:34], v[112:113], -v[13:14]
	buffer_store_dword v112, off, s[36:39], 0 offset:636 ; 4-byte Folded Spill
	buffer_store_dword v113, off, s[36:39], 0 offset:640 ; 4-byte Folded Spill
	;; [unrolled: 1-line block ×4, first 2 shown]
	global_load_dwordx4 v[204:207], v[53:54], off offset:400
	v_fma_f64 v[75:76], v[7:8], v[104:105], v[17:18]
	v_fma_f64 v[96:97], v[35:36], v[112:113], v[5:6]
	ds_read_b128 v[5:8], v176 offset:8960
	ds_read_b128 v[13:16], v176 offset:9856
	s_clause 0x1
	global_load_dwordx4 v[212:215], v[53:54], off offset:416
	global_load_dwordx4 v[208:211], v[53:54], off offset:432
	v_add_f64 v[35:36], v[65:66], v[69:70]
	s_waitcnt vmcnt(3) lgkmcnt(1)
	v_mul_f64 v[17:18], v[7:8], v[202:203]
	v_fma_f64 v[98:99], v[5:6], v[200:201], -v[17:18]
	v_mul_f64 v[5:6], v[5:6], v[202:203]
	v_fma_f64 v[100:101], v[7:8], v[200:201], v[5:6]
	s_waitcnt vmcnt(2)
	v_mul_f64 v[5:6], v[43:44], v[206:207]
	v_fma_f64 v[102:103], v[41:42], v[204:205], -v[5:6]
	v_mul_f64 v[5:6], v[41:42], v[206:207]
	v_add_f64 v[150:151], v[98:99], v[102:103]
	v_fma_f64 v[41:42], v[43:44], v[204:205], v[5:6]
	ds_read_b128 v[5:8], v176 offset:14336
	ds_read_b128 v[17:20], v176 offset:15232
	v_add_f64 v[158:159], v[100:101], v[41:42]
	s_waitcnt vmcnt(1) lgkmcnt(1)
	v_mul_f64 v[33:34], v[7:8], v[214:215]
	v_fma_f64 v[43:44], v[5:6], v[212:213], -v[33:34]
	v_mul_f64 v[5:6], v[5:6], v[214:215]
	v_add_f64 v[33:34], v[55:56], v[29:30]
	v_add_f64 v[148:149], v[77:78], v[43:44]
	v_fma_f64 v[53:54], v[7:8], v[212:213], v[5:6]
	s_waitcnt vmcnt(0)
	v_mul_f64 v[5:6], v[47:48], v[210:211]
	v_add_f64 v[156:157], v[96:97], v[53:54]
	v_fma_f64 v[104:105], v[45:46], v[208:209], -v[5:6]
	v_mul_f64 v[5:6], v[45:46], v[210:211]
	v_fma_f64 v[45:46], v[47:48], v[208:209], v[5:6]
	v_mad_u64_u32 v[5:6], null, 0x60, v120, s[0:1]
	s_clause 0x5
	global_load_dwordx4 v[224:227], v[5:6], off offset:352
	global_load_dwordx4 v[216:219], v[5:6], off offset:368
	;; [unrolled: 1-line block ×6, first 2 shown]
	v_add_f64 v[47:48], v[67:68], v[71:72]
	v_add_f64 v[154:155], v[75:76], v[45:46]
	v_add_f64 v[45:46], v[75:76], -v[45:46]
	s_waitcnt vmcnt(5)
	v_mul_f64 v[7:8], v[11:12], v[226:227]
	s_waitcnt vmcnt(1) lgkmcnt(0)
	v_mul_f64 v[5:6], v[19:20], v[238:239]
	v_fma_f64 v[63:64], v[9:10], v[224:225], -v[7:8]
	v_mul_f64 v[7:8], v[9:10], v[226:227]
	v_fma_f64 v[140:141], v[17:18], v[236:237], -v[5:6]
	v_mul_f64 v[5:6], v[17:18], v[238:239]
	v_add_f64 v[17:18], v[59:60], v[21:22]
	v_fma_f64 v[106:107], v[11:12], v[224:225], v[7:8]
	v_mul_f64 v[7:8], v[39:40], v[218:219]
	v_fma_f64 v[142:143], v[19:20], v[236:237], v[5:6]
	v_fma_f64 v[108:109], v[37:38], v[216:217], -v[7:8]
	v_mul_f64 v[7:8], v[37:38], v[218:219]
	v_add_f64 v[37:38], v[57:58], v[31:32]
	v_add_f64 v[164:165], v[108:109], v[140:141]
	v_fma_f64 v[110:111], v[39:40], v[216:217], v[7:8]
	v_mul_f64 v[7:8], v[15:16], v[234:235]
	v_add_f64 v[39:40], v[61:62], v[23:24]
	v_add_f64 v[172:173], v[110:111], v[142:143]
	v_fma_f64 v[112:113], v[13:14], v[232:233], -v[7:8]
	v_mul_f64 v[7:8], v[13:14], v[234:235]
	v_fma_f64 v[114:115], v[15:16], v[232:233], v[7:8]
	v_mul_f64 v[7:8], v[51:52], v[222:223]
	v_fma_f64 v[116:117], v[49:50], v[220:221], -v[7:8]
	v_mul_f64 v[7:8], v[49:50], v[222:223]
	v_add_f64 v[166:167], v[112:113], v[116:117]
	v_fma_f64 v[118:119], v[51:52], v[220:221], v[7:8]
	ds_read_b128 v[5:8], v176 offset:17920
	v_add_f64 v[51:52], v[73:74], v[104:105]
	s_waitcnt vmcnt(0) lgkmcnt(0)
	v_mul_f64 v[9:10], v[7:8], v[230:231]
	v_add_f64 v[174:175], v[114:115], v[118:119]
	v_add_f64 v[13:14], v[148:149], v[51:52]
	v_fma_f64 v[144:145], v[5:6], v[228:229], -v[9:10]
	v_mul_f64 v[5:6], v[5:6], v[230:231]
	v_add_f64 v[152:153], v[150:151], v[13:14]
	v_add_f64 v[13:14], v[156:157], v[154:155]
	;; [unrolled: 1-line block ×3, first 2 shown]
	v_fma_f64 v[146:147], v[7:8], v[228:229], v[5:6]
	v_add_f64 v[5:6], v[17:18], v[33:34]
	v_add_f64 v[160:161], v[158:159], v[13:14]
	;; [unrolled: 1-line block ×9, first 2 shown]
	ds_read_b128 v[5:8], v176
	ds_read_b128 v[9:12], v176 offset:896
	buffer_store_dword v178, off, s[36:39], 0 ; 4-byte Folded Spill
	s_waitcnt lgkmcnt(0)
	s_waitcnt_vscnt null, 0x0
	s_barrier
	buffer_gl0_inv
	v_add_f64 v[5:6], v[5:6], v[19:20]
	v_add_f64 v[177:178], v[174:175], v[13:14]
	;; [unrolled: 1-line block ×4, first 2 shown]
	v_add_f64 v[25:26], v[55:56], -v[29:30]
	v_add_f64 v[29:30], v[17:18], -v[33:34]
	;; [unrolled: 1-line block ×5, first 2 shown]
	v_add_f64 v[9:10], v[9:10], v[152:153]
	v_add_f64 v[11:12], v[11:12], v[160:161]
	v_fma_f64 v[1:2], v[19:20], s[2:3], v[5:6]
	v_add_f64 v[15:16], v[27:28], v[177:178]
	ds_write_b128 v3, v[5:8]
	v_add_f64 v[5:6], v[59:60], -v[21:22]
	v_fma_f64 v[49:50], v[49:50], s[2:3], v[7:8]
	v_add_f64 v[21:22], v[69:70], -v[65:66]
	v_add_f64 v[7:8], v[61:62], -v[23:24]
	;; [unrolled: 1-line block ×6, first 2 shown]
	v_mul_f64 v[33:34], v[33:34], s[24:25]
	v_fma_f64 v[75:76], v[152:153], s[2:3], v[9:10]
	v_add_f64 v[57:58], v[5:6], -v[25:26]
	v_add_f64 v[17:18], v[21:22], v[5:6]
	v_add_f64 v[19:20], v[21:22], -v[5:6]
	v_add_f64 v[5:6], v[23:24], v[7:8]
	v_add_f64 v[61:62], v[7:8], -v[27:28]
	v_add_f64 v[37:38], v[25:26], -v[21:22]
	v_mul_f64 v[35:36], v[35:36], s[24:25]
	v_add_f64 v[59:60], v[23:24], -v[7:8]
	v_add_f64 v[47:48], v[27:28], -v[23:24]
	v_mul_f64 v[7:8], v[39:40], s[4:5]
	v_mul_f64 v[21:22], v[57:58], s[16:17]
	v_add_f64 v[65:66], v[17:18], v[25:26]
	v_mul_f64 v[69:70], v[19:20], s[20:21]
	v_add_f64 v[67:68], v[5:6], v[27:28]
	v_mul_f64 v[5:6], v[31:32], s[4:5]
	v_mul_f64 v[23:24], v[61:62], s[16:17]
	v_fma_f64 v[27:28], v[55:56], s[26:27], -v[35:36]
	v_mul_f64 v[59:60], v[59:60], s[20:21]
	v_fma_f64 v[25:26], v[29:30], s[26:27], -v[33:34]
	v_fma_f64 v[7:8], v[55:56], s[18:19], -v[7:8]
	v_fma_f64 v[31:32], v[31:32], s[4:5], v[33:34]
	v_fma_f64 v[33:34], v[39:40], s[4:5], v[35:36]
	v_fma_f64 v[21:22], v[37:38], s[28:29], -v[21:22]
	v_fma_f64 v[17:18], v[57:58], s[16:17], -v[69:70]
	v_add_f64 v[57:58], v[150:151], -v[148:149]
	v_fma_f64 v[5:6], v[29:30], s[18:19], -v[5:6]
	v_fma_f64 v[23:24], v[47:48], s[28:29], -v[23:24]
	v_add_f64 v[27:28], v[27:28], v[49:50]
	v_add_f64 v[25:26], v[25:26], v[1:2]
	;; [unrolled: 1-line block ×4, first 2 shown]
	v_add_f64 v[49:50], v[73:74], -v[104:105]
	v_fma_f64 v[29:30], v[65:66], s[14:15], v[21:22]
	v_fma_f64 v[19:20], v[65:66], s[14:15], v[17:18]
	v_fma_f64 v[17:18], v[61:62], s[16:17], -v[59:60]
	v_add_f64 v[71:72], v[5:6], v[1:2]
	v_fma_f64 v[55:56], v[67:68], s[14:15], v[23:24]
	v_add_f64 v[1:2], v[31:32], v[1:2]
	v_add_f64 v[61:62], v[158:159], -v[156:157]
	v_add_f64 v[23:24], v[27:28], -v[29:30]
	v_add_f64 v[27:28], v[29:30], v[27:28]
	v_fma_f64 v[29:30], v[37:38], s[22:23], v[69:70]
	v_fma_f64 v[37:38], v[47:48], s[22:23], v[59:60]
	v_add_f64 v[47:48], v[102:103], -v[98:99]
	v_fma_f64 v[17:18], v[67:68], s[14:15], v[17:18]
	v_add_f64 v[21:22], v[55:56], v[25:26]
	v_add_f64 v[25:26], v[25:26], -v[55:56]
	v_add_f64 v[55:56], v[148:149], -v[51:52]
	;; [unrolled: 1-line block ×4, first 2 shown]
	v_add_f64 v[7:8], v[19:20], v[180:181]
	v_add_f64 v[19:20], v[180:181], -v[19:20]
	v_fma_f64 v[35:36], v[65:66], s[14:15], v[29:30]
	v_fma_f64 v[37:38], v[67:68], s[14:15], v[37:38]
	v_add_f64 v[5:6], v[71:72], -v[17:18]
	v_add_f64 v[17:18], v[17:18], v[71:72]
	v_add_f64 v[31:32], v[39:40], -v[35:36]
	v_add_f64 v[29:30], v[37:38], v[1:2]
	v_add_f64 v[33:34], v[1:2], -v[37:38]
	v_add_f64 v[1:2], v[77:78], -v[43:44]
	;; [unrolled: 1-line block ×4, first 2 shown]
	v_add_f64 v[35:36], v[35:36], v[39:40]
	v_fma_f64 v[77:78], v[160:161], s[2:3], v[11:12]
	v_add_f64 v[100:101], v[174:175], -v[172:173]
	ds_write_b128 v3, v[29:32] offset:384
	ds_write_b128 v3, v[21:24] offset:768
	;; [unrolled: 1-line block ×6, first 2 shown]
	v_add_f64 v[41:42], v[47:48], -v[1:2]
	v_add_f64 v[39:40], v[47:48], v[1:2]
	v_add_f64 v[1:2], v[1:2], -v[49:50]
	v_add_f64 v[65:66], v[53:54], -v[37:38]
	v_add_f64 v[43:44], v[53:54], v[37:38]
	v_add_f64 v[67:68], v[37:38], -v[45:46]
	v_mul_f64 v[37:38], v[57:58], s[4:5]
	v_add_f64 v[53:54], v[45:46], -v[53:54]
	v_mul_f64 v[73:74], v[41:42], s[20:21]
	v_add_f64 v[69:70], v[39:40], v[49:50]
	v_mul_f64 v[39:40], v[61:62], s[4:5]
	v_mul_f64 v[65:66], v[65:66], s[20:21]
	v_add_f64 v[71:72], v[43:44], v[45:46]
	v_mul_f64 v[45:46], v[67:68], s[16:17]
	v_fma_f64 v[37:38], v[55:56], s[18:19], -v[37:38]
	v_fma_f64 v[41:42], v[1:2], s[16:17], -v[73:74]
	v_mul_f64 v[1:2], v[1:2], s[16:17]
	v_fma_f64 v[39:40], v[59:60], s[18:19], -v[39:40]
	v_fma_f64 v[45:46], v[53:54], s[28:29], -v[45:46]
	v_add_f64 v[96:97], v[37:38], v[75:76]
	v_fma_f64 v[53:54], v[53:54], s[22:23], v[65:66]
	v_fma_f64 v[43:44], v[69:70], s[14:15], v[41:42]
	v_fma_f64 v[41:42], v[67:68], s[16:17], -v[65:66]
	v_add_f64 v[98:99], v[39:40], v[77:78]
	v_mul_f64 v[67:68], v[51:52], s[24:25]
	v_fma_f64 v[51:52], v[71:72], s[14:15], v[45:46]
	v_fma_f64 v[41:42], v[71:72], s[14:15], v[41:42]
	v_add_f64 v[39:40], v[43:44], v[98:99]
	v_add_f64 v[43:44], v[98:99], -v[43:44]
	v_add_f64 v[98:99], v[49:50], -v[47:48]
	v_fma_f64 v[47:48], v[55:56], s[26:27], -v[67:68]
	v_add_f64 v[37:38], v[96:97], -v[41:42]
	v_add_f64 v[41:42], v[41:42], v[96:97]
	v_add_f64 v[96:97], v[154:155], -v[158:159]
	v_fma_f64 v[1:2], v[98:99], s[28:29], -v[1:2]
	v_add_f64 v[55:56], v[47:48], v[75:76]
	v_mul_f64 v[96:97], v[96:97], s[24:25]
	v_fma_f64 v[1:2], v[69:70], s[14:15], v[1:2]
	v_add_f64 v[45:46], v[51:52], v[55:56]
	v_fma_f64 v[49:50], v[59:60], s[26:27], -v[96:97]
	v_add_f64 v[59:60], v[49:50], v[77:78]
	v_add_f64 v[49:50], v[55:56], -v[51:52]
	v_fma_f64 v[55:56], v[57:58], s[4:5], v[67:68]
	v_fma_f64 v[57:58], v[61:62], s[4:5], v[96:97]
	v_add_f64 v[96:97], v[166:167], -v[164:165]
	v_add_f64 v[47:48], v[59:60], -v[1:2]
	v_add_f64 v[51:52], v[1:2], v[59:60]
	v_fma_f64 v[1:2], v[98:99], s[22:23], v[73:74]
	v_fma_f64 v[59:60], v[71:72], s[14:15], v[53:54]
	v_add_f64 v[61:62], v[55:56], v[75:76]
	v_add_f64 v[65:66], v[57:58], v[77:78]
	v_add_f64 v[71:72], v[63:64], -v[144:145]
	v_add_f64 v[73:74], v[118:119], -v[114:115]
	;; [unrolled: 1-line block ×5, first 2 shown]
	v_fma_f64 v[114:115], v[177:178], s[2:3], v[15:16]
	v_fma_f64 v[1:2], v[69:70], s[14:15], v[1:2]
	v_add_f64 v[69:70], v[116:117], -v[112:113]
	v_add_f64 v[53:54], v[59:60], v[61:62]
	v_add_f64 v[57:58], v[61:62], -v[59:60]
	v_add_f64 v[61:62], v[110:111], -v[142:143]
	v_fma_f64 v[112:113], v[168:169], s[2:3], v[13:14]
	v_add_f64 v[142:143], v[75:76], -v[73:74]
	v_add_f64 v[55:56], v[65:66], -v[1:2]
	v_add_f64 v[59:60], v[1:2], v[65:66]
	v_add_f64 v[1:2], v[108:109], -v[140:141]
	v_add_f64 v[140:141], v[71:72], -v[69:70]
	;; [unrolled: 1-line block ×3, first 2 shown]
	v_add_f64 v[67:68], v[73:74], v[61:62]
	v_add_f64 v[104:105], v[61:62], -v[75:76]
	v_mul_f64 v[61:62], v[96:97], s[4:5]
	v_add_f64 v[65:66], v[69:70], -v[1:2]
	v_add_f64 v[63:64], v[69:70], v[1:2]
	v_add_f64 v[1:2], v[1:2], -v[71:72]
	v_mul_f64 v[102:103], v[102:103], s[20:21]
	v_add_f64 v[108:109], v[67:68], v[75:76]
	v_fma_f64 v[61:62], v[77:78], s[18:19], -v[61:62]
	v_mul_f64 v[69:70], v[104:105], s[16:17]
	v_mul_f64 v[110:111], v[65:66], s[20:21]
	v_add_f64 v[106:107], v[63:64], v[71:72]
	v_mul_f64 v[63:64], v[100:101], s[4:5]
	v_add_f64 v[116:117], v[61:62], v[112:113]
	v_fma_f64 v[69:70], v[142:143], s[28:29], -v[69:70]
	v_fma_f64 v[65:66], v[1:2], s[16:17], -v[110:111]
	v_mul_f64 v[1:2], v[1:2], s[16:17]
	v_fma_f64 v[63:64], v[98:99], s[18:19], -v[63:64]
	v_fma_f64 v[75:76], v[108:109], s[14:15], v[69:70]
	v_fma_f64 v[67:68], v[106:107], s[14:15], v[65:66]
	v_fma_f64 v[65:66], v[104:105], s[16:17], -v[102:103]
	v_add_f64 v[118:119], v[63:64], v[114:115]
	v_fma_f64 v[1:2], v[140:141], s[28:29], -v[1:2]
	v_fma_f64 v[65:66], v[108:109], s[14:15], v[65:66]
	v_add_f64 v[63:64], v[67:68], v[118:119]
	v_add_f64 v[67:68], v[118:119], -v[67:68]
	v_add_f64 v[118:119], v[170:171], -v[174:175]
	v_fma_f64 v[1:2], v[106:107], s[14:15], v[1:2]
	v_add_f64 v[61:62], v[116:117], -v[65:66]
	v_add_f64 v[65:66], v[65:66], v[116:117]
	v_add_f64 v[116:117], v[162:163], -v[166:167]
	v_mul_f64 v[104:105], v[116:117], s[24:25]
	v_mul_f64 v[116:117], v[118:119], s[24:25]
	v_fma_f64 v[71:72], v[77:78], s[26:27], -v[104:105]
	v_fma_f64 v[73:74], v[98:99], s[26:27], -v[116:117]
	v_fma_f64 v[96:97], v[96:97], s[4:5], v[104:105]
	v_add_f64 v[77:78], v[71:72], v[112:113]
	v_add_f64 v[98:99], v[73:74], v[114:115]
	;; [unrolled: 1-line block ×3, first 2 shown]
	v_add_f64 v[71:72], v[98:99], -v[1:2]
	v_add_f64 v[73:74], v[77:78], -v[75:76]
	v_add_f64 v[75:76], v[1:2], v[98:99]
	v_fma_f64 v[1:2], v[140:141], s[22:23], v[110:111]
	v_fma_f64 v[98:99], v[100:101], s[4:5], v[116:117]
	;; [unrolled: 1-line block ×3, first 2 shown]
	v_add_f64 v[100:101], v[96:97], v[112:113]
	v_mov_b32_e32 v142, v3
	v_fma_f64 v[1:2], v[106:107], s[14:15], v[1:2]
	v_add_f64 v[102:103], v[98:99], v[114:115]
	v_fma_f64 v[77:78], v[108:109], s[14:15], v[77:78]
	v_add_f64 v[98:99], v[102:103], -v[1:2]
	v_add_f64 v[110:111], v[1:2], v[102:103]
	v_mul_u32_u24_sdwa v1, v4, v121 dst_sel:DWORD dst_unused:UNUSED_PAD src0_sel:WORD_0 src1_sel:DWORD
	v_add_f64 v[96:97], v[77:78], v[100:101]
	v_add_f64 v[108:109], v[100:101], -v[77:78]
	v_mul_u32_u24_sdwa v2, v79, v121 dst_sel:DWORD dst_unused:UNUSED_PAD src0_sel:WORD_0 src1_sel:DWORD
	v_add_lshl_u32 v143, v1, v0, 4
	ds_write_b128 v143, v[9:12]
	ds_write_b128 v143, v[53:56] offset:384
	ds_write_b128 v143, v[45:48] offset:768
	;; [unrolled: 1-line block ×6, first 2 shown]
	buffer_load_dword v0, off, s[36:39], 0  ; 4-byte Folded Reload
	v_add_lshl_u32 v179, v2, v120, 4
	ds_write_b128 v179, v[13:16]
	ds_write_b128 v179, v[96:99] offset:384
	ds_write_b128 v179, v[69:72] offset:768
	;; [unrolled: 1-line block ×6, first 2 shown]
	s_waitcnt vmcnt(0) lgkmcnt(0)
	s_barrier
	buffer_gl0_inv
	ds_read_b128 v[4:7], v176 offset:2688
	ds_read_b128 v[252:255], v176 offset:1792
	v_mad_u64_u32 v[0:1], null, 0x60, v0, s[0:1]
	v_add_co_u32 v2, s0, 0x800, v0
	v_add_co_ci_u32_e64 v3, s0, 0, v1, s0
	v_add_co_u32 v8, s0, 0xa60, v0
	v_add_co_ci_u32_e64 v9, s0, 0, v1, s0
	s_clause 0x2
	global_load_dwordx4 v[14:17], v[2:3], off offset:608
	global_load_dwordx4 v[18:21], v[8:9], off offset:16
	;; [unrolled: 1-line block ×3, first 2 shown]
	s_waitcnt vmcnt(2) lgkmcnt(1)
	v_mul_f64 v[10:11], v[6:7], v[16:17]
	v_mul_f64 v[12:13], v[4:5], v[16:17]
	v_fma_f64 v[54:55], v[4:5], v[14:15], -v[10:11]
	buffer_store_dword v14, off, s[36:39], 0 offset:544 ; 4-byte Folded Spill
	buffer_store_dword v15, off, s[36:39], 0 offset:548 ; 4-byte Folded Spill
	;; [unrolled: 1-line block ×4, first 2 shown]
	global_load_dwordx4 v[26:29], v[8:9], off offset:32
	v_fma_f64 v[52:53], v[6:7], v[14:15], v[12:13]
	ds_read_b128 v[4:7], v176 offset:5376
	ds_read_b128 v[8:11], v176 offset:6272
	s_waitcnt vmcnt(2) lgkmcnt(1)
	v_mul_f64 v[12:13], v[6:7], v[20:21]
	v_fma_f64 v[64:65], v[4:5], v[18:19], -v[12:13]
	v_mul_f64 v[4:5], v[4:5], v[20:21]
	buffer_store_dword v18, off, s[36:39], 0 offset:576 ; 4-byte Folded Spill
	buffer_store_dword v19, off, s[36:39], 0 offset:580 ; 4-byte Folded Spill
	;; [unrolled: 1-line block ×4, first 2 shown]
	v_fma_f64 v[58:59], v[6:7], v[18:19], v[4:5]
	ds_read_b128 v[4:7], v176 offset:8064
	ds_read_b128 v[12:15], v176 offset:7168
	s_waitcnt vmcnt(0) lgkmcnt(1)
	v_mul_f64 v[16:17], v[6:7], v[28:29]
	v_fma_f64 v[246:247], v[4:5], v[26:27], -v[16:17]
	v_mul_f64 v[4:5], v[4:5], v[28:29]
	buffer_store_dword v26, off, s[36:39], 0 offset:700 ; 4-byte Folded Spill
	buffer_store_dword v27, off, s[36:39], 0 offset:704 ; 4-byte Folded Spill
	;; [unrolled: 1-line block ×4, first 2 shown]
	v_fma_f64 v[244:245], v[6:7], v[26:27], v[4:5]
	ds_read_b128 v[4:7], v176 offset:10752
	ds_read_b128 v[16:19], v176 offset:11648
	s_waitcnt lgkmcnt(1)
	v_mul_f64 v[20:21], v[6:7], v[24:25]
	v_fma_f64 v[74:75], v[4:5], v[22:23], -v[20:21]
	v_mul_f64 v[4:5], v[4:5], v[24:25]
	buffer_store_dword v22, off, s[36:39], 0 offset:560 ; 4-byte Folded Spill
	buffer_store_dword v23, off, s[36:39], 0 offset:564 ; 4-byte Folded Spill
	;; [unrolled: 1-line block ×4, first 2 shown]
	v_add_f64 v[112:113], v[246:247], v[74:75]
	v_fma_f64 v[72:73], v[6:7], v[22:23], v[4:5]
	v_add_co_u32 v4, s0, 0xaa0, v0
	v_add_co_ci_u32_e64 v5, s0, 0, v1, s0
	s_clause 0x1
	global_load_dwordx4 v[156:159], v[2:3], off offset:672
	global_load_dwordx4 v[180:183], v[4:5], off offset:16
	ds_read_b128 v[2:5], v176 offset:13440
	ds_read_b128 v[20:23], v176 offset:12544
	v_add_f64 v[120:121], v[244:245], v[72:73]
	s_waitcnt vmcnt(1) lgkmcnt(1)
	v_mul_f64 v[6:7], v[4:5], v[158:159]
	v_fma_f64 v[78:79], v[2:3], v[156:157], -v[6:7]
	v_mul_f64 v[2:3], v[2:3], v[158:159]
	v_add_f64 v[177:178], v[64:65], v[78:79]
	v_fma_f64 v[76:77], v[4:5], v[156:157], v[2:3]
	ds_read_b128 v[2:5], v176 offset:16128
	ds_read_b128 v[24:27], v176 offset:17024
	ds_read_b128 v[172:175], v176 offset:4480
	v_add_f64 v[64:65], v[64:65], -v[78:79]
	v_add_f64 v[78:79], v[74:75], -v[246:247]
	s_waitcnt vmcnt(0) lgkmcnt(2)
	v_mul_f64 v[6:7], v[4:5], v[182:183]
	v_add_f64 v[118:119], v[58:59], v[76:77]
	v_fma_f64 v[108:109], v[2:3], v[180:181], -v[6:7]
	v_add_co_u32 v6, s0, 0x1800, v0
	v_add_co_ci_u32_e64 v7, s0, 0, v1, s0
	v_mul_f64 v[2:3], v[2:3], v[182:183]
	v_add_co_u32 v30, s0, 0x1f60, v0
	global_load_dwordx4 v[160:163], v[6:7], off offset:1888
	v_add_co_ci_u32_e64 v31, s0, 0, v1, s0
	global_load_dwordx4 v[144:147], v[30:31], off offset:48
	v_add_f64 v[242:243], v[54:55], v[108:109]
	v_fma_f64 v[110:111], v[4:5], v[180:181], v[2:3]
	ds_read_b128 v[2:5], v176 offset:3584
	s_clause 0x1
	global_load_dwordx4 v[168:171], v[30:31], off offset:16
	global_load_dwordx4 v[152:155], v[30:31], off offset:32
	v_add_f64 v[116:117], v[52:53], v[110:111]
	s_waitcnt vmcnt(3) lgkmcnt(0)
	v_mul_f64 v[28:29], v[4:5], v[162:163]
	v_fma_f64 v[32:33], v[2:3], v[160:161], -v[28:29]
	v_mul_f64 v[2:3], v[2:3], v[162:163]
	v_fma_f64 v[28:29], v[4:5], v[160:161], v[2:3]
	s_waitcnt vmcnt(1)
	v_mul_f64 v[2:3], v[10:11], v[170:171]
	v_fma_f64 v[38:39], v[8:9], v[168:169], -v[2:3]
	v_mul_f64 v[2:3], v[8:9], v[170:171]
	v_fma_f64 v[36:37], v[10:11], v[168:169], v[2:3]
	ds_read_b128 v[2:5], v176 offset:8960
	ds_read_b128 v[192:195], v176 offset:9856
	s_waitcnt vmcnt(0) lgkmcnt(1)
	v_mul_f64 v[8:9], v[4:5], v[154:155]
	v_fma_f64 v[44:45], v[2:3], v[152:153], -v[8:9]
	v_mul_f64 v[2:3], v[2:3], v[154:155]
	v_fma_f64 v[42:43], v[4:5], v[152:153], v[2:3]
	v_mul_f64 v[2:3], v[18:19], v[146:147]
	v_fma_f64 v[50:51], v[16:17], v[144:145], -v[2:3]
	v_mul_f64 v[2:3], v[16:17], v[146:147]
	v_add_f64 v[126:127], v[44:45], v[50:51]
	v_fma_f64 v[48:49], v[18:19], v[144:145], v[2:3]
	v_add_co_u32 v2, s0, 0x1fa0, v0
	v_add_co_ci_u32_e64 v3, s0, 0, v1, s0
	s_clause 0x1
	global_load_dwordx4 v[96:99], v[6:7], off offset:1952
	global_load_dwordx4 v[164:167], v[2:3], off offset:16
	ds_read_b128 v[2:5], v176 offset:14336
	ds_read_b128 v[248:251], v176 offset:15232
	v_add_co_u32 v18, s0, 0x3000, v0
	v_add_co_ci_u32_e64 v19, s0, 0, v1, s0
	v_add_f64 v[50:51], v[50:51], -v[44:45]
	v_add_f64 v[134:135], v[42:43], v[48:49]
	v_add_f64 v[48:49], v[48:49], -v[42:43]
	s_waitcnt vmcnt(1) lgkmcnt(1)
	v_mul_f64 v[6:7], v[4:5], v[98:99]
	v_fma_f64 v[66:67], v[2:3], v[96:97], -v[6:7]
	v_add_co_u32 v6, s0, 0x3460, v0
	v_add_co_ci_u32_e64 v7, s0, 0, v1, s0
	s_clause 0x1
	global_load_dwordx4 v[184:187], v[18:19], off offset:1120
	global_load_dwordx4 v[148:151], v[6:7], off offset:48
	v_mul_f64 v[2:3], v[2:3], v[98:99]
	v_add_co_u32 v0, s0, 0x34a0, v0
	v_add_co_ci_u32_e64 v1, s0, 0, v1, s0
	v_add_f64 v[124:125], v[38:39], v[66:67]
	v_add_f64 v[38:39], v[38:39], -v[66:67]
	v_fma_f64 v[60:61], v[4:5], v[96:97], v[2:3]
	s_waitcnt vmcnt(2)
	v_mul_f64 v[2:3], v[26:27], v[166:167]
	v_add_f64 v[44:45], v[50:51], -v[38:39]
	v_add_f64 v[42:43], v[50:51], v[38:39]
	v_add_f64 v[132:133], v[36:37], v[60:61]
	v_fma_f64 v[70:71], v[24:25], v[164:165], -v[2:3]
	v_mul_f64 v[2:3], v[24:25], v[166:167]
	v_add_f64 v[36:37], v[36:37], -v[60:61]
	v_add_f64 v[66:67], v[134:135], -v[132:133]
	v_add_f64 v[240:241], v[32:33], v[70:71]
	v_fma_f64 v[68:69], v[26:27], v[164:165], v[2:3]
	v_add_f64 v[32:33], v[32:33], -v[70:71]
	v_add_f64 v[70:71], v[48:49], -v[36:37]
	v_add_f64 v[130:131], v[28:29], v[68:69]
	v_add_f64 v[28:29], v[28:29], -v[68:69]
	v_add_f64 v[68:69], v[38:39], -v[32:33]
	v_add_f64 v[38:39], v[48:49], v[36:37]
	v_mul_f64 v[70:71], v[70:71], s[20:21]
	v_add_f64 v[60:61], v[132:133], -v[130:131]
	s_waitcnt vmcnt(1)
	v_mul_f64 v[2:3], v[174:175], v[186:187]
	v_fma_f64 v[4:5], v[172:173], v[184:185], -v[2:3]
	v_mul_f64 v[2:3], v[172:173], v[186:187]
	v_fma_f64 v[2:3], v[174:175], v[184:185], v[2:3]
	s_clause 0x1
	global_load_dwordx4 v[188:191], v[6:7], off offset:16
	global_load_dwordx4 v[172:175], v[6:7], off offset:32
	s_waitcnt vmcnt(1)
	v_mul_f64 v[6:7], v[14:15], v[190:191]
	s_waitcnt vmcnt(0)
	v_mul_f64 v[10:11], v[194:195], v[174:175]
	v_fma_f64 v[8:9], v[12:13], v[188:189], -v[6:7]
	v_mul_f64 v[6:7], v[12:13], v[190:191]
	v_fma_f64 v[12:13], v[192:193], v[172:173], -v[10:11]
	v_mul_f64 v[10:11], v[192:193], v[174:175]
	v_fma_f64 v[6:7], v[14:15], v[188:189], v[6:7]
	v_mul_f64 v[14:15], v[22:23], v[150:151]
	v_fma_f64 v[10:11], v[194:195], v[172:173], v[10:11]
	s_clause 0x1
	global_load_dwordx4 v[196:199], v[18:19], off offset:1184
	global_load_dwordx4 v[192:195], v[0:1], off offset:16
	v_fma_f64 v[16:17], v[20:21], v[148:149], -v[14:15]
	v_mul_f64 v[14:15], v[20:21], v[150:151]
	v_fma_f64 v[14:15], v[22:23], v[148:149], v[14:15]
	ds_read_b128 v[22:25], v176 offset:17920
	v_add_f64 v[34:35], v[10:11], v[14:15]
	v_add_f64 v[10:11], v[14:15], -v[10:11]
	s_waitcnt vmcnt(1) lgkmcnt(1)
	v_mul_f64 v[0:1], v[250:251], v[198:199]
	v_fma_f64 v[20:21], v[248:249], v[196:197], -v[0:1]
	v_mul_f64 v[0:1], v[248:249], v[198:199]
	v_add_f64 v[56:57], v[8:9], v[20:21]
	v_fma_f64 v[18:19], v[250:251], v[196:197], v[0:1]
	s_waitcnt vmcnt(0) lgkmcnt(0)
	v_mul_f64 v[0:1], v[24:25], v[194:195]
	ds_read_b128 v[248:251], v176
	ds_read_b128 v[100:103], v176 offset:896
	v_add_f64 v[8:9], v[8:9], -v[20:21]
	v_add_f64 v[62:63], v[6:7], v[18:19]
	v_fma_f64 v[30:31], v[22:23], v[192:193], -v[0:1]
	v_mul_f64 v[0:1], v[22:23], v[194:195]
	v_add_f64 v[22:23], v[12:13], v[16:17]
	v_add_f64 v[12:13], v[16:17], -v[12:13]
	v_add_f64 v[16:17], v[4:5], -v[30:31]
	v_fma_f64 v[24:25], v[24:25], v[192:193], v[0:1]
	v_add_f64 v[0:1], v[177:178], v[242:243]
	v_add_f64 v[20:21], v[22:23], -v[56:57]
	v_add_f64 v[14:15], v[2:3], -v[24:25]
	v_add_f64 v[114:115], v[112:113], v[0:1]
	v_add_f64 v[0:1], v[118:119], v[116:117]
	s_waitcnt lgkmcnt(1)
	v_add_f64 v[104:105], v[248:249], v[114:115]
	v_add_f64 v[122:123], v[120:121], v[0:1]
	;; [unrolled: 1-line block ×3, first 2 shown]
	v_fma_f64 v[114:115], v[114:115], s[2:3], v[104:105]
	v_add_f64 v[106:107], v[250:251], v[122:123]
	v_add_f64 v[128:129], v[126:127], v[0:1]
	;; [unrolled: 1-line block ×3, first 2 shown]
	v_fma_f64 v[122:123], v[122:123], s[2:3], v[106:107]
	s_waitcnt lgkmcnt(0)
	v_add_f64 v[248:249], v[100:101], v[128:129]
	v_add_f64 v[100:101], v[54:55], -v[108:109]
	v_add_f64 v[54:55], v[58:59], -v[76:77]
	;; [unrolled: 1-line block ×5, first 2 shown]
	v_add_f64 v[136:137], v[134:135], v[0:1]
	ds_write_b128 v176, v[104:107]
	v_add_f64 v[104:105], v[112:113], -v[177:178]
	v_add_f64 v[106:107], v[118:119], -v[116:117]
	;; [unrolled: 1-line block ×3, first 2 shown]
	v_add_f64 v[52:53], v[78:79], v[64:65]
	v_add_f64 v[112:113], v[242:243], -v[112:113]
	v_add_f64 v[116:117], v[116:117], -v[120:121]
	v_add_f64 v[0:1], v[4:5], v[30:31]
	v_add_f64 v[4:5], v[6:7], -v[18:19]
	v_add_f64 v[30:31], v[8:9], -v[16:17]
	;; [unrolled: 1-line block ×5, first 2 shown]
	v_add_f64 v[74:75], v[58:59], v[54:55]
	v_add_f64 v[118:119], v[54:55], -v[76:77]
	v_mul_f64 v[244:245], v[72:73], s[20:21]
	v_add_f64 v[250:251], v[102:103], v[136:137]
	v_add_f64 v[102:103], v[177:178], -v[242:243]
	v_add_f64 v[110:111], v[58:59], -v[54:55]
	v_add_f64 v[58:59], v[76:77], -v[58:59]
	v_mul_f64 v[54:55], v[108:109], s[4:5]
	v_add_f64 v[138:139], v[52:53], v[100:101]
	v_mul_f64 v[112:113], v[112:113], s[24:25]
	v_mul_f64 v[116:117], v[116:117], s[24:25]
	;; [unrolled: 1-line block ×3, first 2 shown]
	v_add_f64 v[26:27], v[56:57], v[0:1]
	v_add_f64 v[18:19], v[56:57], -v[0:1]
	v_add_f64 v[56:57], v[4:5], -v[14:15]
	;; [unrolled: 1-line block ×3, first 2 shown]
	v_add_f64 v[177:178], v[74:75], v[76:77]
	v_mul_f64 v[76:77], v[118:119], s[16:17]
	v_fma_f64 v[72:73], v[64:65], s[16:17], -v[244:245]
	v_mul_f64 v[64:65], v[64:65], s[16:17]
	v_mul_f64 v[110:111], v[110:111], s[20:21]
	v_fma_f64 v[54:55], v[106:107], s[18:19], -v[54:55]
	v_fma_f64 v[78:79], v[102:103], s[26:27], -v[112:113]
	;; [unrolled: 1-line block ×4, first 2 shown]
	v_fma_f64 v[104:105], v[104:105], s[4:5], v[112:113]
	v_add_f64 v[112:113], v[36:37], -v[28:29]
	v_add_f64 v[40:41], v[22:23], v[26:27]
	v_add_f64 v[26:27], v[2:3], v[24:25]
	;; [unrolled: 1-line block ×4, first 2 shown]
	v_mul_f64 v[0:1], v[0:1], s[24:25]
	v_fma_f64 v[76:77], v[58:59], s[28:29], -v[76:77]
	v_fma_f64 v[74:75], v[138:139], s[14:15], v[72:73]
	v_fma_f64 v[64:65], v[120:121], s[28:29], -v[64:65]
	v_fma_f64 v[72:73], v[118:119], s[16:17], -v[110:111]
	v_fma_f64 v[58:59], v[58:59], s[22:23], v[110:111]
	v_add_f64 v[140:141], v[54:55], v[122:123]
	v_add_f64 v[106:107], v[78:79], v[114:115]
	;; [unrolled: 1-line block ×6, first 2 shown]
	v_add_f64 v[22:23], v[26:27], -v[34:35]
	v_add_f64 v[24:25], v[62:63], -v[26:27]
	;; [unrolled: 1-line block ×3, first 2 shown]
	v_mul_f64 v[12:13], v[56:57], s[16:17]
	v_fma_f64 v[102:103], v[177:178], s[14:15], v[76:77]
	v_fma_f64 v[64:65], v[138:139], s[14:15], v[64:65]
	;; [unrolled: 1-line block ×4, first 2 shown]
	v_add_f64 v[54:55], v[74:75], v[140:141]
	v_add_f64 v[74:75], v[140:141], -v[74:75]
	buffer_load_dword v140, off, s[36:39], 0 ; 4-byte Folded Reload
	v_fma_f64 v[40:41], v[40:41], s[2:3], v[252:253]
	v_add_f64 v[46:47], v[34:35], v[46:47]
	v_mul_f64 v[22:23], v[22:23], s[24:25]
	v_add_f64 v[76:77], v[102:103], v[106:107]
	v_add_f64 v[100:101], v[106:107], -v[102:103]
	v_add_f64 v[78:79], v[118:119], -v[64:65]
	v_add_f64 v[102:103], v[64:65], v[118:119]
	v_fma_f64 v[64:65], v[120:121], s[22:23], v[244:245]
	v_fma_f64 v[106:107], v[108:109], s[4:5], v[116:117]
	v_add_f64 v[108:109], v[104:105], v[114:115]
	v_mul_f64 v[118:119], v[44:45], s[20:21]
	v_add_f64 v[114:115], v[42:43], v[32:33]
	v_add_f64 v[116:117], v[38:39], v[28:29]
	v_fma_f64 v[120:121], v[128:129], s[2:3], v[248:249]
	v_add_f64 v[32:33], v[32:33], -v[50:51]
	v_add_f64 v[28:29], v[28:29], -v[48:49]
	v_mul_f64 v[48:49], v[68:69], s[16:17]
	v_mul_f64 v[50:51], v[112:113], s[16:17]
	;; [unrolled: 1-line block ×3, first 2 shown]
	v_add_f64 v[254:255], v[254:255], v[46:47]
	v_add_f64 v[52:53], v[246:247], -v[72:73]
	v_add_f64 v[72:73], v[72:73], v[246:247]
	v_fma_f64 v[64:65], v[138:139], s[14:15], v[64:65]
	v_add_f64 v[110:111], v[106:107], v[122:123]
	v_add_f64 v[104:105], v[58:59], v[108:109]
	v_add_f64 v[108:109], v[108:109], -v[58:59]
	v_add_f64 v[58:59], v[124:125], -v[240:241]
	v_fma_f64 v[42:43], v[68:69], s[16:17], -v[118:119]
	v_fma_f64 v[122:123], v[136:137], s[2:3], v[250:251]
	v_fma_f64 v[48:49], v[32:33], s[28:29], -v[48:49]
	v_fma_f64 v[50:51], v[28:29], s[28:29], -v[50:51]
	v_fma_f64 v[32:33], v[32:33], s[22:23], v[118:119]
	v_fma_f64 v[28:29], v[28:29], s[22:23], v[70:71]
	v_fma_f64 v[38:39], v[60:61], s[18:19], -v[38:39]
	v_fma_f64 v[46:47], v[46:47], s[2:3], v[254:255]
	s_add_u32 s2, s12, 0x4980
	s_addc_u32 s3, s13, 0
	v_add_f64 v[106:107], v[110:111], -v[64:65]
	v_add_f64 v[110:111], v[64:65], v[110:111]
	v_add_f64 v[64:65], v[126:127], -v[124:125]
	v_fma_f64 v[44:45], v[114:115], s[14:15], v[42:43]
	v_fma_f64 v[42:43], v[112:113], s[16:17], -v[70:71]
	v_fma_f64 v[32:33], v[114:115], s[14:15], v[32:33]
	v_fma_f64 v[28:29], v[116:117], s[14:15], v[28:29]
	v_add_f64 v[128:129], v[38:39], v[122:123]
	v_mul_f64 v[36:37], v[64:65], s[4:5]
	v_fma_f64 v[42:43], v[116:117], s[14:15], v[42:43]
	v_add_f64 v[38:39], v[44:45], v[128:129]
	v_add_f64 v[44:45], v[128:129], -v[44:45]
	v_fma_f64 v[36:37], v[58:59], s[18:19], -v[36:37]
	v_add_f64 v[124:125], v[36:37], v[120:121]
	v_add_f64 v[36:37], v[124:125], -v[42:43]
	v_add_f64 v[42:43], v[42:43], v[124:125]
	v_add_f64 v[124:125], v[240:241], -v[126:127]
	v_add_f64 v[126:127], v[130:131], -v[134:135]
	v_mul_f64 v[68:69], v[124:125], s[24:25]
	v_mul_f64 v[112:113], v[126:127], s[24:25]
	v_fma_f64 v[124:125], v[114:115], s[14:15], v[48:49]
	v_mul_f64 v[114:115], v[6:7], s[20:21]
	v_fma_f64 v[126:127], v[116:117], s[14:15], v[50:51]
	v_fma_f64 v[64:65], v[64:65], s[4:5], v[68:69]
	;; [unrolled: 1-line block ×3, first 2 shown]
	v_fma_f64 v[58:59], v[58:59], s[26:27], -v[68:69]
	v_fma_f64 v[60:61], v[60:61], s[26:27], -v[112:113]
	v_add_f64 v[112:113], v[8:9], v[14:15]
	v_fma_f64 v[6:7], v[30:31], s[16:17], -v[114:115]
	v_add_f64 v[68:69], v[64:65], v[120:121]
	v_add_f64 v[70:71], v[66:67], v[122:123]
	;; [unrolled: 1-line block ×5, first 2 shown]
	v_add_f64 v[66:67], v[70:71], -v[32:33]
	v_add_f64 v[68:69], v[68:69], -v[28:29]
	v_add_f64 v[70:71], v[32:33], v[70:71]
	v_add_f64 v[28:29], v[34:35], -v[62:63]
	v_add_f64 v[32:33], v[10:11], -v[4:5]
	;; [unrolled: 1-line block ×3, first 2 shown]
	v_mul_f64 v[10:11], v[30:31], s[16:17]
	v_add_f64 v[62:63], v[2:3], v[16:17]
	v_mul_f64 v[2:3], v[20:21], s[4:5]
	v_fma_f64 v[14:15], v[18:19], s[26:27], -v[0:1]
	v_fma_f64 v[16:17], v[24:25], s[26:27], -v[22:23]
	v_fma_f64 v[0:1], v[20:21], s[4:5], v[0:1]
	v_add_f64 v[48:49], v[126:127], v[58:59]
	v_add_f64 v[50:51], v[60:61], -v[124:125]
	v_add_f64 v[58:59], v[58:59], -v[126:127]
	v_add_f64 v[60:61], v[124:125], v[60:61]
	v_mul_f64 v[4:5], v[28:29], s[4:5]
	v_mul_f64 v[32:33], v[32:33], s[20:21]
	v_fma_f64 v[12:13], v[34:35], s[28:29], -v[12:13]
	v_fma_f64 v[10:11], v[26:27], s[28:29], -v[10:11]
	v_fma_f64 v[20:21], v[28:29], s[4:5], v[22:23]
	v_fma_f64 v[2:3], v[18:19], s[18:19], -v[2:3]
	v_add_f64 v[14:15], v[14:15], v[40:41]
	v_add_f64 v[16:17], v[16:17], v[46:47]
	v_fma_f64 v[8:9], v[62:63], s[14:15], v[6:7]
	v_add_f64 v[0:1], v[0:1], v[40:41]
	v_fma_f64 v[4:5], v[24:25], s[18:19], -v[4:5]
	v_fma_f64 v[6:7], v[56:57], s[16:17], -v[32:33]
	v_fma_f64 v[24:25], v[112:113], s[14:15], v[12:13]
	v_fma_f64 v[18:19], v[62:63], s[14:15], v[10:11]
	v_add_f64 v[116:117], v[2:3], v[40:41]
	v_add_f64 v[118:119], v[4:5], v[46:47]
	v_fma_f64 v[6:7], v[112:113], s[14:15], v[6:7]
	v_add_f64 v[10:11], v[24:25], v[14:15]
	v_add_f64 v[12:13], v[16:17], -v[18:19]
	v_add_f64 v[14:15], v[14:15], -v[24:25]
	v_add_f64 v[16:17], v[18:19], v[16:17]
	v_fma_f64 v[18:19], v[26:27], s[22:23], v[114:115]
	v_fma_f64 v[24:25], v[34:35], s[22:23], v[32:33]
	v_add_f64 v[26:27], v[20:21], v[46:47]
	v_add_f64 v[4:5], v[8:9], v[118:119]
	v_add_f64 v[2:3], v[116:117], -v[6:7]
	v_add_f64 v[6:7], v[6:7], v[116:117]
	v_add_f64 v[8:9], v[118:119], -v[8:9]
	v_fma_f64 v[22:23], v[62:63], s[14:15], v[18:19]
	v_fma_f64 v[24:25], v[112:113], s[14:15], v[24:25]
	v_add_f64 v[246:247], v[22:23], v[26:27]
	v_add_f64 v[244:245], v[0:1], -v[24:25]
	v_add_f64 v[18:19], v[24:25], v[0:1]
	v_add_f64 v[20:21], v[26:27], -v[22:23]
	ds_write_b128 v176, v[248:251] offset:896
	ds_write_b128 v176, v[252:255] offset:1792
	;; [unrolled: 1-line block ×19, first 2 shown]
	s_waitcnt vmcnt(0)
	v_lshlrev_b32_e32 v2, 4, v140
	v_add_co_u32 v79, s0, s2, v2
	v_add_co_ci_u32_e64 v108, null, s3, 0, s0
	ds_write_b128 v176, v[244:247] offset:17920
	s_waitcnt lgkmcnt(0)
	s_waitcnt_vscnt null, 0x0
	s_barrier
	buffer_gl0_inv
	buffer_load_dword v0, off, s[36:39], 0 offset:372 ; 4-byte Folded Reload
	s_waitcnt vmcnt(0)
	s_clause 0x1
	global_load_dwordx4 v[3:6], v0, s[2:3]
	global_load_dwordx4 v[7:10], v2, s[2:3]
	ds_read_b128 v[11:14], v176
	ds_read_b128 v[15:18], v176 offset:896
	ds_read_b128 v[23:26], v176 offset:9408
	;; [unrolled: 1-line block ×3, first 2 shown]
	s_waitcnt vmcnt(0) lgkmcnt(3)
	v_mul_f64 v[0:1], v[13:14], v[9:10]
	v_mul_f64 v[19:20], v[11:12], v[9:10]
	v_fma_f64 v[9:10], v[11:12], v[7:8], -v[0:1]
	v_add_co_u32 v0, s0, 0x2000, v79
	v_add_co_ci_u32_e64 v1, s0, 0, v108, s0
	v_fma_f64 v[11:12], v[13:14], v[7:8], v[19:20]
	v_add_co_u32 v7, s0, 0x2800, v79
	global_load_dwordx4 v[19:22], v[0:1], off offset:1216
	v_add_co_ci_u32_e64 v8, s0, 0, v108, s0
	global_load_dwordx4 v[27:30], v[7:8], off offset:64
	s_waitcnt vmcnt(1) lgkmcnt(1)
	v_mul_f64 v[13:14], v[25:26], v[21:22]
	v_mul_f64 v[35:36], v[23:24], v[21:22]
	v_fma_f64 v[21:22], v[23:24], v[19:20], -v[13:14]
	v_fma_f64 v[23:24], v[25:26], v[19:20], v[35:36]
	s_clause 0x1
	global_load_dwordx4 v[35:38], v2, s[2:3] offset:896
	global_load_dwordx4 v[39:42], v2, s[2:3] offset:1792
	s_waitcnt vmcnt(1)
	v_mul_f64 v[13:14], v[17:18], v[37:38]
	v_mul_f64 v[19:20], v[15:16], v[37:38]
	v_fma_f64 v[13:14], v[15:16], v[35:36], -v[13:14]
	v_fma_f64 v[15:16], v[17:18], v[35:36], v[19:20]
	s_waitcnt lgkmcnt(0)
	v_mul_f64 v[17:18], v[33:34], v[29:30]
	v_mul_f64 v[19:20], v[31:32], v[29:30]
	v_fma_f64 v[17:18], v[31:32], v[27:28], -v[17:18]
	v_fma_f64 v[19:20], v[33:34], v[27:28], v[19:20]
	ds_read_b128 v[25:28], v176 offset:1792
	ds_read_b128 v[29:32], v176 offset:2688
	s_waitcnt vmcnt(0) lgkmcnt(1)
	v_mul_f64 v[33:34], v[27:28], v[41:42]
	v_mul_f64 v[35:36], v[25:26], v[41:42]
	v_fma_f64 v[25:26], v[25:26], v[39:40], -v[33:34]
	v_fma_f64 v[27:28], v[27:28], v[39:40], v[35:36]
	s_clause 0x1
	global_load_dwordx4 v[33:36], v[7:8], off offset:960
	global_load_dwordx4 v[37:40], v[7:8], off offset:1856
	ds_read_b128 v[41:44], v176 offset:11200
	ds_read_b128 v[45:48], v176 offset:12096
	s_waitcnt vmcnt(1) lgkmcnt(1)
	v_mul_f64 v[7:8], v[43:44], v[35:36]
	v_mul_f64 v[35:36], v[41:42], v[35:36]
	v_fma_f64 v[41:42], v[41:42], v[33:34], -v[7:8]
	v_add_co_u32 v7, s0, 0x800, v79
	v_add_co_ci_u32_e64 v8, s0, 0, v108, s0
	v_fma_f64 v[43:44], v[43:44], v[33:34], v[35:36]
	s_clause 0x1
	global_load_dwordx4 v[33:36], v[7:8], off offset:640
	global_load_dwordx4 v[49:52], v[7:8], off offset:1536
	s_waitcnt vmcnt(1)
	v_mul_f64 v[7:8], v[31:32], v[35:36]
	v_mul_f64 v[35:36], v[29:30], v[35:36]
	v_fma_f64 v[29:30], v[29:30], v[33:34], -v[7:8]
	v_fma_f64 v[31:32], v[31:32], v[33:34], v[35:36]
	s_waitcnt lgkmcnt(0)
	v_mul_f64 v[7:8], v[47:48], v[39:40]
	v_mul_f64 v[35:36], v[45:46], v[39:40]
	v_fma_f64 v[33:34], v[45:46], v[37:38], -v[7:8]
	v_fma_f64 v[35:36], v[47:48], v[37:38], v[35:36]
	ds_read_b128 v[37:40], v176 offset:3584
	ds_read_b128 v[45:48], v176 offset:4480
	s_waitcnt vmcnt(0) lgkmcnt(1)
	v_mul_f64 v[7:8], v[39:40], v[51:52]
	v_mul_f64 v[51:52], v[37:38], v[51:52]
	v_fma_f64 v[37:38], v[37:38], v[49:50], -v[7:8]
	v_add_co_u32 v7, s0, 0x3000, v79
	v_add_co_ci_u32_e64 v8, s0, 0, v108, s0
	v_fma_f64 v[39:40], v[39:40], v[49:50], v[51:52]
	s_clause 0x1
	global_load_dwordx4 v[49:52], v[7:8], off offset:704
	global_load_dwordx4 v[53:56], v[7:8], off offset:1600
	ds_read_b128 v[57:60], v176 offset:12992
	ds_read_b128 v[61:64], v176 offset:13888
	s_waitcnt vmcnt(1) lgkmcnt(1)
	v_mul_f64 v[7:8], v[59:60], v[51:52]
	v_mul_f64 v[51:52], v[57:58], v[51:52]
	v_fma_f64 v[57:58], v[57:58], v[49:50], -v[7:8]
	v_add_co_u32 v7, s0, 0x1000, v79
	v_add_co_ci_u32_e64 v8, s0, 0, v108, s0
	v_fma_f64 v[59:60], v[59:60], v[49:50], v[51:52]
	s_clause 0x1
	global_load_dwordx4 v[49:52], v[7:8], off offset:384
	global_load_dwordx4 v[65:68], v[7:8], off offset:1280
	s_waitcnt vmcnt(1)
	v_mul_f64 v[7:8], v[47:48], v[51:52]
	v_mul_f64 v[51:52], v[45:46], v[51:52]
	v_fma_f64 v[45:46], v[45:46], v[49:50], -v[7:8]
	v_fma_f64 v[47:48], v[47:48], v[49:50], v[51:52]
	s_waitcnt lgkmcnt(0)
	v_mul_f64 v[7:8], v[63:64], v[55:56]
	v_mul_f64 v[51:52], v[61:62], v[55:56]
	v_fma_f64 v[49:50], v[61:62], v[53:54], -v[7:8]
	v_fma_f64 v[51:52], v[63:64], v[53:54], v[51:52]
	ds_read_b128 v[53:56], v176 offset:5376
	ds_read_b128 v[61:64], v176 offset:6272
	s_waitcnt vmcnt(0) lgkmcnt(1)
	v_mul_f64 v[7:8], v[55:56], v[67:68]
	v_mul_f64 v[67:68], v[53:54], v[67:68]
	v_fma_f64 v[53:54], v[53:54], v[65:66], -v[7:8]
	v_add_co_u32 v7, s0, 0x3800, v79
	v_add_co_ci_u32_e64 v8, s0, 0, v108, s0
	v_fma_f64 v[55:56], v[55:56], v[65:66], v[67:68]
	s_clause 0x1
	global_load_dwordx4 v[65:68], v[7:8], off offset:448
	global_load_dwordx4 v[69:72], v[7:8], off offset:1344
	ds_read_b128 v[73:76], v176 offset:14784
	ds_read_b128 v[100:103], v176 offset:15680
	s_waitcnt vmcnt(1) lgkmcnt(1)
	v_mul_f64 v[7:8], v[75:76], v[67:68]
	v_mul_f64 v[67:68], v[73:74], v[67:68]
	v_fma_f64 v[73:74], v[73:74], v[65:66], -v[7:8]
	v_add_co_u32 v7, s0, 0x1800, v79
	v_add_co_ci_u32_e64 v8, s0, 0, v108, s0
	v_fma_f64 v[75:76], v[75:76], v[65:66], v[67:68]
	s_clause 0x1
	global_load_dwordx4 v[65:68], v[7:8], off offset:128
	global_load_dwordx4 v[104:107], v[7:8], off offset:1920
	v_add_co_u32 v2, s0, 0x4000, v79
	s_waitcnt vmcnt(1)
	v_mul_f64 v[7:8], v[63:64], v[67:68]
	v_mul_f64 v[67:68], v[61:62], v[67:68]
	v_fma_f64 v[61:62], v[61:62], v[65:66], -v[7:8]
	v_fma_f64 v[63:64], v[63:64], v[65:66], v[67:68]
	s_waitcnt lgkmcnt(0)
	v_mul_f64 v[7:8], v[102:103], v[71:72]
	v_mul_f64 v[67:68], v[100:101], v[71:72]
	v_fma_f64 v[65:66], v[100:101], v[69:70], -v[7:8]
	v_fma_f64 v[67:68], v[102:103], v[69:70], v[67:68]
	ds_read_b128 v[69:72], v176 offset:7168
	ds_read_b128 v[100:103], v176 offset:8064
	s_waitcnt lgkmcnt(1)
	v_mul_f64 v[7:8], v[71:72], v[5:6]
	v_mul_f64 v[77:78], v[69:70], v[5:6]
	v_fma_f64 v[5:6], v[69:70], v[3:4], -v[7:8]
	v_fma_f64 v[7:8], v[71:72], v[3:4], v[77:78]
	v_add_co_ci_u32_e64 v3, s0, 0, v108, s0
	s_clause 0x1
	global_load_dwordx4 v[69:72], v[2:3], off offset:192
	global_load_dwordx4 v[108:111], v[2:3], off offset:1088
	ds_read_b128 v[240:243], v176 offset:16576
	ds_read_b128 v[248:251], v176 offset:17472
	s_waitcnt vmcnt(1) lgkmcnt(1)
	v_mul_f64 v[77:78], v[242:243], v[71:72]
	v_mul_f64 v[71:72], v[240:241], v[71:72]
	v_fma_f64 v[240:241], v[240:241], v[69:70], -v[77:78]
	v_fma_f64 v[242:243], v[242:243], v[69:70], v[71:72]
	v_mul_f64 v[71:72], v[100:101], v[106:107]
	v_mul_f64 v[69:70], v[102:103], v[106:107]
	s_waitcnt vmcnt(0) lgkmcnt(0)
	v_mul_f64 v[77:78], v[250:251], v[110:111]
	v_fma_f64 v[71:72], v[102:103], v[104:105], v[71:72]
	v_mul_f64 v[102:103], v[248:249], v[110:111]
	v_fma_f64 v[69:70], v[100:101], v[104:105], -v[69:70]
	v_fma_f64 v[100:101], v[248:249], v[108:109], -v[77:78]
	v_fma_f64 v[102:103], v[250:251], v[108:109], v[102:103]
	ds_write_b128 v176, v[9:12]
	ds_write_b128 v176, v[21:24] offset:9408
	ds_write_b128 v176, v[13:16] offset:896
	;; [unrolled: 1-line block ×19, first 2 shown]
	s_and_saveexec_b32 s0, vcc_lo
	s_cbranch_execz .LBB0_17
; %bb.16:
	s_clause 0x1
	global_load_dwordx4 v[4:7], v[0:1], off offset:768
	global_load_dwordx4 v[0:3], v[2:3], off offset:1984
	ds_read_b128 v[8:11], v176 offset:8960
	ds_read_b128 v[12:15], v176 offset:18368
	s_waitcnt vmcnt(1) lgkmcnt(1)
	v_mul_f64 v[16:17], v[10:11], v[6:7]
	v_mul_f64 v[6:7], v[8:9], v[6:7]
	s_waitcnt vmcnt(0) lgkmcnt(0)
	v_mul_f64 v[18:19], v[14:15], v[2:3]
	v_mul_f64 v[20:21], v[12:13], v[2:3]
	v_fma_f64 v[2:3], v[8:9], v[4:5], -v[16:17]
	v_fma_f64 v[4:5], v[10:11], v[4:5], v[6:7]
	v_fma_f64 v[6:7], v[12:13], v[0:1], -v[18:19]
	v_fma_f64 v[8:9], v[14:15], v[0:1], v[20:21]
	ds_write_b128 v176, v[2:5] offset:8960
	ds_write_b128 v176, v[6:9] offset:18368
.LBB0_17:
	s_or_b32 exec_lo, exec_lo, s0
	s_waitcnt lgkmcnt(0)
	s_barrier
	buffer_gl0_inv
	ds_read_b128 v[0:3], v176
	ds_read_b128 v[4:7], v176 offset:896
	ds_read_b128 v[68:71], v176 offset:9408
	;; [unrolled: 1-line block ×19, first 2 shown]
	s_and_saveexec_b32 s0, vcc_lo
	s_cbranch_execz .LBB0_19
; %bb.18:
	ds_read_b128 v[244:247], v176 offset:8960
	ds_read_b128 v[72:75], v176 offset:18368
	s_waitcnt lgkmcnt(0)
	buffer_store_dword v72, off, s[36:39], 0 offset:8 ; 4-byte Folded Spill
	buffer_store_dword v73, off, s[36:39], 0 offset:12 ; 4-byte Folded Spill
	;; [unrolled: 1-line block ×4, first 2 shown]
.LBB0_19:
	s_or_b32 exec_lo, exec_lo, s0
	s_clause 0x3
	buffer_load_dword v76, off, s[36:39], 0 offset:8
	buffer_load_dword v77, off, s[36:39], 0 offset:12
	;; [unrolled: 1-line block ×4, first 2 shown]
	s_waitcnt vmcnt(0) lgkmcnt(0)
	s_waitcnt_vscnt null, 0x0
	s_barrier
	buffer_gl0_inv
	buffer_load_dword v100, off, s[36:39], 0 offset:376 ; 4-byte Folded Reload
	v_add_f64 v[68:69], v[0:1], -v[68:69]
	v_add_f64 v[70:71], v[2:3], -v[70:71]
	;; [unrolled: 1-line block ×20, first 2 shown]
	v_fma_f64 v[0:1], v[0:1], 2.0, -v[68:69]
	v_fma_f64 v[2:3], v[2:3], 2.0, -v[70:71]
	;; [unrolled: 1-line block ×16, first 2 shown]
	s_waitcnt vmcnt(0)
	ds_write_b128 v100, v[0:3]
	ds_write_b128 v100, v[68:71] offset:16
	buffer_load_dword v0, off, s[36:39], 0 offset:380 ; 4-byte Folded Reload
	v_add_f64 v[248:249], v[244:245], -v[76:77]
	v_add_f64 v[250:251], v[246:247], -v[78:79]
	v_fma_f64 v[76:77], v[252:253], 2.0, -v[36:37]
	v_fma_f64 v[78:79], v[254:255], 2.0, -v[38:39]
	;; [unrolled: 1-line block ×4, first 2 shown]
	s_waitcnt vmcnt(0)
	ds_write_b128 v0, v[4:7]
	ds_write_b128 v0, v[64:67] offset:16
	buffer_load_dword v0, off, s[36:39], 0 offset:384 ; 4-byte Folded Reload
	v_fma_f64 v[240:241], v[244:245], 2.0, -v[248:249]
	v_fma_f64 v[242:243], v[246:247], 2.0, -v[250:251]
	s_waitcnt vmcnt(0)
	ds_write_b128 v0, v[8:11]
	ds_write_b128 v0, v[60:63] offset:16
	buffer_load_dword v0, off, s[36:39], 0 offset:388 ; 4-byte Folded Reload
	s_waitcnt vmcnt(0)
	ds_write_b128 v0, v[12:15]
	ds_write_b128 v0, v[56:59] offset:16
	buffer_load_dword v0, off, s[36:39], 0 offset:392 ; 4-byte Folded Reload
	;; [unrolled: 4-line block ×7, first 2 shown]
	s_waitcnt vmcnt(0)
	ds_write_b128 v0, v[32:35]
	ds_write_b128 v0, v[72:75] offset:16
	s_and_saveexec_b32 s0, vcc_lo
	s_cbranch_execz .LBB0_21
; %bb.20:
	buffer_load_dword v0, off, s[36:39], 0 offset:724 ; 4-byte Folded Reload
	s_waitcnt vmcnt(0)
	ds_write_b128 v0, v[240:243]
	ds_write_b128 v0, v[248:251] offset:16
.LBB0_21:
	s_or_b32 exec_lo, exec_lo, s0
	s_waitcnt lgkmcnt(0)
	s_barrier
	buffer_gl0_inv
	ds_read_b128 v[244:247], v176
	ds_read_b128 v[252:255], v176 offset:896
	ds_read_b128 v[68:71], v176 offset:9408
	;; [unrolled: 1-line block ×19, first 2 shown]
	s_and_saveexec_b32 s0, vcc_lo
	s_cbranch_execz .LBB0_23
; %bb.22:
	ds_read_b128 v[240:243], v176 offset:8960
	ds_read_b128 v[248:251], v176 offset:18368
.LBB0_23:
	s_or_b32 exec_lo, exec_lo, s0
	s_waitcnt lgkmcnt(17)
	v_mul_f64 v[72:73], v[82:83], v[70:71]
	s_waitcnt lgkmcnt(13)
	v_mul_f64 v[100:101], v[82:83], v[58:59]
	v_mul_f64 v[74:75], v[82:83], v[68:69]
	v_mul_f64 v[102:103], v[82:83], v[56:57]
	s_waitcnt lgkmcnt(9)
	v_mul_f64 v[110:111], v[82:83], v[60:61]
	v_mul_f64 v[104:105], v[82:83], v[54:55]
	;; [unrolled: 4-line block ×3, first 2 shown]
	s_waitcnt lgkmcnt(0)
	s_barrier
	buffer_gl0_inv
	v_mul_f64 v[78:79], v[82:83], v[64:65]
	v_mul_f64 v[76:77], v[82:83], v[66:67]
	v_fma_f64 v[68:69], v[80:81], v[68:69], v[72:73]
	v_mul_f64 v[72:73], v[82:83], v[48:49]
	v_fma_f64 v[56:57], v[80:81], v[56:57], v[100:101]
	v_mul_f64 v[100:101], v[82:83], v[32:33]
	v_fma_f64 v[62:63], v[80:81], v[62:63], -v[110:111]
	v_fma_f64 v[52:53], v[80:81], v[52:53], v[104:105]
	v_fma_f64 v[70:71], v[80:81], v[70:71], -v[74:75]
	v_fma_f64 v[104:105], v[80:81], v[48:49], v[112:113]
	v_mul_f64 v[74:75], v[82:83], v[38:39]
	v_fma_f64 v[54:55], v[80:81], v[54:55], -v[106:107]
	v_mul_f64 v[48:49], v[82:83], v[44:45]
	v_fma_f64 v[58:59], v[80:81], v[58:59], -v[102:103]
	v_fma_f64 v[66:67], v[80:81], v[66:67], -v[78:79]
	v_mul_f64 v[78:79], v[82:83], v[34:35]
	v_mul_f64 v[102:103], v[82:83], v[46:47]
	v_mul_f64 v[106:107], v[82:83], v[40:41]
	v_fma_f64 v[64:65], v[80:81], v[64:65], v[76:77]
	v_mul_f64 v[76:77], v[82:83], v[36:37]
	v_fma_f64 v[60:61], v[80:81], v[60:61], v[108:109]
	v_mul_f64 v[108:109], v[82:83], v[250:251]
	v_fma_f64 v[72:73], v[80:81], v[50:51], -v[72:73]
	v_mul_f64 v[50:51], v[82:83], v[42:43]
	v_fma_f64 v[100:101], v[80:81], v[34:35], -v[100:101]
	v_mul_f64 v[82:83], v[82:83], v[248:249]
	v_add_f64 v[34:35], v[246:247], -v[70:71]
	v_fma_f64 v[74:75], v[80:81], v[36:37], v[74:75]
	v_fma_f64 v[110:111], v[80:81], v[46:47], -v[48:49]
	v_add_f64 v[46:47], v[6:7], -v[54:55]
	v_fma_f64 v[78:79], v[80:81], v[32:33], v[78:79]
	v_add_f64 v[32:33], v[244:245], -v[68:69]
	v_fma_f64 v[106:107], v[80:81], v[42:43], -v[106:107]
	v_add_f64 v[36:37], v[252:253], -v[64:65]
	v_fma_f64 v[76:77], v[80:81], v[38:39], -v[76:77]
	v_add_f64 v[38:39], v[254:255], -v[66:67]
	v_add_f64 v[42:43], v[2:3], -v[58:59]
	;; [unrolled: 1-line block ×3, first 2 shown]
	v_fma_f64 v[102:103], v[80:81], v[44:45], v[102:103]
	v_add_f64 v[44:45], v[4:5], -v[52:53]
	v_add_f64 v[54:55], v[14:15], -v[72:73]
	v_fma_f64 v[112:113], v[80:81], v[40:41], v[50:51]
	v_add_f64 v[50:51], v[10:11], -v[62:63]
	v_add_f64 v[62:63], v[22:23], -v[100:101]
	buffer_load_dword v100, off, s[36:39], 0 offset:452 ; 4-byte Folded Reload
	v_add_f64 v[40:41], v[0:1], -v[56:57]
	v_add_f64 v[52:53], v[12:13], -v[104:105]
	;; [unrolled: 1-line block ×3, first 2 shown]
	v_fma_f64 v[74:75], v[246:247], 2.0, -v[34:35]
	v_add_f64 v[66:67], v[26:27], -v[110:111]
	v_fma_f64 v[6:7], v[6:7], 2.0, -v[46:47]
	v_fma_f64 v[108:109], v[80:81], v[248:249], v[108:109]
	v_add_f64 v[60:61], v[20:21], -v[78:79]
	v_fma_f64 v[72:73], v[244:245], 2.0, -v[32:33]
	v_fma_f64 v[82:83], v[80:81], v[250:251], -v[82:83]
	v_add_f64 v[70:71], v[30:31], -v[106:107]
	v_add_f64 v[58:59], v[18:19], -v[76:77]
	v_fma_f64 v[76:77], v[252:253], 2.0, -v[36:37]
	v_fma_f64 v[78:79], v[254:255], 2.0, -v[38:39]
	;; [unrolled: 1-line block ×6, first 2 shown]
	v_add_f64 v[64:65], v[24:25], -v[102:103]
	v_fma_f64 v[10:11], v[10:11], 2.0, -v[50:51]
	v_fma_f64 v[22:23], v[22:23], 2.0, -v[62:63]
	v_add_f64 v[68:69], v[28:29], -v[112:113]
	v_fma_f64 v[0:1], v[0:1], 2.0, -v[40:41]
	v_fma_f64 v[12:13], v[12:13], 2.0, -v[52:53]
	;; [unrolled: 1-line block ×3, first 2 shown]
	s_waitcnt vmcnt(0)
	ds_write_b128 v100, v[72:75]
	ds_write_b128 v100, v[32:35] offset:32
	buffer_load_dword v32, off, s[36:39], 0 offset:448 ; 4-byte Folded Reload
	v_fma_f64 v[18:19], v[18:19], 2.0, -v[58:59]
	v_fma_f64 v[20:21], v[20:21], 2.0, -v[60:61]
	;; [unrolled: 1-line block ×4, first 2 shown]
	v_add_f64 v[80:81], v[240:241], -v[108:109]
	v_add_f64 v[82:83], v[242:243], -v[82:83]
	v_fma_f64 v[28:29], v[28:29], 2.0, -v[68:69]
	v_fma_f64 v[30:31], v[30:31], 2.0, -v[70:71]
	s_waitcnt vmcnt(0)
	ds_write_b128 v32, v[76:79]
	ds_write_b128 v32, v[36:39] offset:32
	buffer_load_dword v32, off, s[36:39], 0 offset:444 ; 4-byte Folded Reload
	v_fma_f64 v[240:241], v[240:241], 2.0, -v[80:81]
	v_fma_f64 v[242:243], v[242:243], 2.0, -v[82:83]
	s_waitcnt vmcnt(0)
	ds_write_b128 v32, v[0:3]
	ds_write_b128 v32, v[40:43] offset:32
	buffer_load_dword v0, off, s[36:39], 0 offset:440 ; 4-byte Folded Reload
	s_waitcnt vmcnt(0)
	ds_write_b128 v0, v[4:7]
	ds_write_b128 v0, v[44:47] offset:32
	buffer_load_dword v0, off, s[36:39], 0 offset:432 ; 4-byte Folded Reload
	;; [unrolled: 4-line block ×7, first 2 shown]
	s_waitcnt vmcnt(0)
	ds_write_b128 v0, v[28:31]
	ds_write_b128 v0, v[68:71] offset:32
	s_and_saveexec_b32 s0, vcc_lo
	s_cbranch_execz .LBB0_25
; %bb.24:
	s_clause 0x1
	buffer_load_dword v0, off, s[36:39], 0 offset:4
	buffer_load_dword v1, off, s[36:39], 0 offset:716
	s_waitcnt vmcnt(0)
	v_and_or_b32 v0, 0x4fc, v0, v1
	v_lshlrev_b32_e32 v0, 4, v0
	ds_write_b128 v0, v[240:243]
	ds_write_b128 v0, v[80:83] offset:32
.LBB0_25:
	s_or_b32 exec_lo, exec_lo, s0
	s_waitcnt lgkmcnt(0)
	s_barrier
	buffer_gl0_inv
	ds_read_b128 v[0:3], v176
	ds_read_b128 v[4:7], v176 offset:896
	ds_read_b128 v[68:71], v176 offset:9408
	;; [unrolled: 1-line block ×19, first 2 shown]
	s_and_saveexec_b32 s0, vcc_lo
	s_cbranch_execz .LBB0_27
; %bb.26:
	ds_read_b128 v[240:243], v176 offset:8960
	ds_read_b128 v[80:83], v176 offset:18368
.LBB0_27:
	s_or_b32 exec_lo, exec_lo, s0
	s_waitcnt lgkmcnt(13)
	v_mul_f64 v[100:101], v[86:87], v[66:67]
	v_mul_f64 v[74:75], v[86:87], v[68:69]
	;; [unrolled: 1-line block ×4, first 2 shown]
	s_waitcnt lgkmcnt(12)
	v_mul_f64 v[104:105], v[86:87], v[34:35]
	v_mul_f64 v[106:107], v[86:87], v[32:33]
	s_waitcnt lgkmcnt(0)
	s_barrier
	buffer_gl0_inv
	v_mul_f64 v[76:77], v[86:87], v[62:63]
	v_mul_f64 v[78:79], v[86:87], v[60:61]
	;; [unrolled: 1-line block ×9, first 2 shown]
	v_fma_f64 v[64:65], v[84:85], v[64:65], v[100:101]
	v_mul_f64 v[100:101], v[86:87], v[52:53]
	v_fma_f64 v[70:71], v[84:85], v[70:71], -v[74:75]
	v_fma_f64 v[66:67], v[84:85], v[66:67], -v[102:103]
	v_fma_f64 v[102:103], v[84:85], v[32:33], v[104:105]
	v_fma_f64 v[104:105], v[84:85], v[34:35], -v[106:107]
	v_fma_f64 v[68:69], v[84:85], v[68:69], v[72:73]
	v_mul_f64 v[72:73], v[86:87], v[44:45]
	v_mul_f64 v[74:75], v[86:87], v[58:59]
	v_fma_f64 v[60:61], v[84:85], v[60:61], v[76:77]
	v_fma_f64 v[62:63], v[84:85], v[62:63], -v[78:79]
	v_fma_f64 v[106:107], v[84:85], v[40:41], v[108:109]
	v_fma_f64 v[108:109], v[84:85], v[42:43], -v[110:111]
	;; [unrolled: 2-line block ×4, first 2 shown]
	v_fma_f64 v[118:119], v[84:85], v[44:45], v[120:121]
	v_mul_f64 v[78:79], v[86:87], v[54:55]
	v_mul_f64 v[76:77], v[86:87], v[56:57]
	v_add_f64 v[40:41], v[12:13], -v[64:65]
	v_fma_f64 v[100:101], v[84:85], v[54:55], -v[100:101]
	v_add_f64 v[34:35], v[2:3], -v[70:71]
	v_add_f64 v[42:43], v[14:15], -v[66:67]
	;; [unrolled: 1-line block ×4, first 2 shown]
	v_fma_f64 v[72:73], v[84:85], v[46:47], -v[72:73]
	v_add_f64 v[46:47], v[18:19], -v[104:105]
	v_add_f64 v[36:37], v[4:5], -v[60:61]
	;; [unrolled: 1-line block ×5, first 2 shown]
	v_fma_f64 v[74:75], v[84:85], v[56:57], v[74:75]
	v_add_f64 v[54:55], v[26:27], -v[112:113]
	v_add_f64 v[56:57], v[28:29], -v[114:115]
	;; [unrolled: 1-line block ×3, first 2 shown]
	v_fma_f64 v[78:79], v[84:85], v[52:53], v[78:79]
	v_add_f64 v[52:53], v[24:25], -v[110:111]
	v_fma_f64 v[76:77], v[84:85], v[58:59], -v[76:77]
	v_add_f64 v[58:59], v[30:31], -v[116:117]
	v_fma_f64 v[12:13], v[12:13], 2.0, -v[40:41]
	v_add_f64 v[70:71], v[10:11], -v[100:101]
	buffer_load_dword v100, off, s[36:39], 0 offset:540 ; 4-byte Folded Reload
	v_fma_f64 v[2:3], v[2:3], 2.0, -v[34:35]
	v_fma_f64 v[14:15], v[14:15], 2.0, -v[42:43]
	;; [unrolled: 1-line block ×4, first 2 shown]
	v_add_f64 v[62:63], v[246:247], -v[72:73]
	v_fma_f64 v[18:19], v[18:19], 2.0, -v[46:47]
	v_fma_f64 v[4:5], v[4:5], 2.0, -v[36:37]
	;; [unrolled: 1-line block ×5, first 2 shown]
	v_add_f64 v[64:65], v[248:249], -v[74:75]
	v_fma_f64 v[26:27], v[26:27], 2.0, -v[54:55]
	v_fma_f64 v[28:29], v[28:29], 2.0, -v[56:57]
	s_waitcnt vmcnt(0)
	ds_write_b128 v100, v[32:35] offset:64
	ds_write_b128 v100, v[0:3]
	buffer_load_dword v0, off, s[36:39], 0 offset:536 ; 4-byte Folded Reload
	v_fma_f64 v[24:25], v[24:25], 2.0, -v[52:53]
	v_fma_f64 v[30:31], v[30:31], 2.0, -v[58:59]
	;; [unrolled: 1-line block ×4, first 2 shown]
	v_add_f64 v[66:67], v[250:251], -v[76:77]
	v_add_f64 v[68:69], v[8:9], -v[78:79]
	v_fma_f64 v[76:77], v[248:249], 2.0, -v[64:65]
	v_fma_f64 v[10:11], v[10:11], 2.0, -v[70:71]
	s_waitcnt vmcnt(0)
	ds_write_b128 v0, v[4:7]
	ds_write_b128 v0, v[36:39] offset:64
	buffer_load_dword v0, off, s[36:39], 0 offset:532 ; 4-byte Folded Reload
	v_fma_f64 v[78:79], v[250:251], 2.0, -v[66:67]
	v_fma_f64 v[8:9], v[8:9], 2.0, -v[68:69]
	s_waitcnt vmcnt(0)
	ds_write_b128 v0, v[12:15]
	ds_write_b128 v0, v[40:43] offset:64
	buffer_load_dword v0, off, s[36:39], 0 offset:524 ; 4-byte Folded Reload
	s_waitcnt vmcnt(0)
	ds_write_b128 v0, v[16:19]
	ds_write_b128 v0, v[44:47] offset:64
	buffer_load_dword v0, off, s[36:39], 0 offset:520 ; 4-byte Folded Reload
	;; [unrolled: 4-line block ×7, first 2 shown]
	s_waitcnt vmcnt(0)
	ds_write_b128 v0, v[8:11]
	ds_write_b128 v0, v[68:71] offset:64
	s_and_saveexec_b32 s0, vcc_lo
	s_cbranch_execz .LBB0_29
; %bb.28:
	s_clause 0x1
	buffer_load_dword v8, off, s[36:39], 0 offset:4
	buffer_load_dword v9, off, s[36:39], 0 offset:720
	v_mul_f64 v[0:1], v[86:87], v[80:81]
	v_mul_f64 v[2:3], v[86:87], v[82:83]
	v_fma_f64 v[0:1], v[84:85], v[82:83], -v[0:1]
	v_fma_f64 v[4:5], v[84:85], v[80:81], v[2:3]
	v_add_f64 v[2:3], v[242:243], -v[0:1]
	v_add_f64 v[0:1], v[240:241], -v[4:5]
	v_fma_f64 v[6:7], v[242:243], 2.0, -v[2:3]
	v_fma_f64 v[4:5], v[240:241], 2.0, -v[0:1]
	s_waitcnt vmcnt(0)
	v_and_or_b32 v8, 0x4f8, v8, v9
	v_lshlrev_b32_e32 v8, 4, v8
	ds_write_b128 v8, v[4:7]
	ds_write_b128 v8, v[0:3] offset:64
.LBB0_29:
	s_or_b32 exec_lo, exec_lo, s0
	s_waitcnt lgkmcnt(0)
	s_barrier
	buffer_gl0_inv
	ds_read_b128 v[0:3], v176 offset:6272
	ds_read_b128 v[4:7], v176 offset:5376
	s_mov_b32 s0, 0xe8584caa
	s_mov_b32 s1, 0xbfebb67a
	;; [unrolled: 1-line block ×18, first 2 shown]
	s_waitcnt lgkmcnt(1)
	v_mul_f64 v[8:9], v[94:95], v[2:3]
	s_mov_b32 s19, 0x3fd5d0dc
	s_mov_b32 s18, s12
	v_fma_f64 v[12:13], v[92:93], v[0:1], v[8:9]
	v_mul_f64 v[0:1], v[94:95], v[0:1]
	v_fma_f64 v[14:15], v[92:93], v[2:3], -v[0:1]
	ds_read_b128 v[0:3], v176 offset:7168
	ds_read_b128 v[8:11], v176 offset:8064
	s_waitcnt lgkmcnt(1)
	v_mul_f64 v[16:17], v[94:95], v[2:3]
	v_fma_f64 v[36:37], v[92:93], v[0:1], v[16:17]
	v_mul_f64 v[0:1], v[94:95], v[0:1]
	v_fma_f64 v[38:39], v[92:93], v[2:3], -v[0:1]
	s_waitcnt lgkmcnt(0)
	v_mul_f64 v[0:1], v[94:95], v[10:11]
	v_fma_f64 v[40:41], v[92:93], v[8:9], v[0:1]
	v_mul_f64 v[0:1], v[94:95], v[8:9]
	v_fma_f64 v[42:43], v[92:93], v[10:11], -v[0:1]
	ds_read_b128 v[0:3], v176 offset:8960
	ds_read_b128 v[8:11], v176 offset:9856
	s_waitcnt lgkmcnt(1)
	v_mul_f64 v[16:17], v[94:95], v[2:3]
	v_fma_f64 v[44:45], v[92:93], v[0:1], v[16:17]
	v_mul_f64 v[0:1], v[94:95], v[0:1]
	v_fma_f64 v[46:47], v[92:93], v[2:3], -v[0:1]
	s_waitcnt lgkmcnt(0)
	v_mul_f64 v[0:1], v[94:95], v[10:11]
	;; [unrolled: 12-line block ×4, first 2 shown]
	v_add_f64 v[22:23], v[14:15], v[18:19]
	v_fma_f64 v[60:61], v[88:89], v[8:9], v[0:1]
	v_mul_f64 v[0:1], v[90:91], v[8:9]
	v_fma_f64 v[62:63], v[88:89], v[10:11], -v[0:1]
	ds_read_b128 v[0:3], v176 offset:14336
	ds_read_b128 v[8:11], v176 offset:15232
	s_waitcnt lgkmcnt(1)
	v_mul_f64 v[20:21], v[90:91], v[2:3]
	v_fma_f64 v[64:65], v[88:89], v[0:1], v[20:21]
	v_mul_f64 v[0:1], v[90:91], v[0:1]
	v_fma_f64 v[66:67], v[88:89], v[2:3], -v[0:1]
	s_waitcnt lgkmcnt(0)
	v_mul_f64 v[0:1], v[90:91], v[10:11]
	v_fma_f64 v[68:69], v[88:89], v[8:9], v[0:1]
	v_mul_f64 v[0:1], v[90:91], v[8:9]
	v_fma_f64 v[70:71], v[88:89], v[10:11], -v[0:1]
	ds_read_b128 v[0:3], v176 offset:16128
	ds_read_b128 v[8:11], v176 offset:17024
	s_waitcnt lgkmcnt(1)
	v_mul_f64 v[20:21], v[90:91], v[2:3]
	v_fma_f64 v[72:73], v[88:89], v[0:1], v[20:21]
	v_mul_f64 v[0:1], v[90:91], v[0:1]
	v_add_f64 v[20:21], v[12:13], v[16:17]
	v_fma_f64 v[74:75], v[88:89], v[2:3], -v[0:1]
	s_waitcnt lgkmcnt(0)
	v_mul_f64 v[0:1], v[90:91], v[10:11]
	v_fma_f64 v[76:77], v[88:89], v[8:9], v[0:1]
	v_mul_f64 v[0:1], v[90:91], v[8:9]
	v_fma_f64 v[78:79], v[88:89], v[10:11], -v[0:1]
	ds_read_b128 v[0:3], v176 offset:17920
	s_waitcnt lgkmcnt(0)
	v_mul_f64 v[8:9], v[90:91], v[2:3]
	v_fma_f64 v[80:81], v[88:89], v[0:1], v[8:9]
	v_mul_f64 v[0:1], v[90:91], v[0:1]
	v_fma_f64 v[82:83], v[88:89], v[2:3], -v[0:1]
	ds_read_b128 v[0:3], v176
	ds_read_b128 v[8:11], v176 offset:896
	s_waitcnt lgkmcnt(1)
	v_fma_f64 v[22:23], v[22:23], -0.5, v[2:3]
	v_add_f64 v[2:3], v[2:3], v[14:15]
	v_fma_f64 v[20:21], v[20:21], -0.5, v[0:1]
	v_add_f64 v[0:1], v[0:1], v[12:13]
	v_add_f64 v[14:15], v[14:15], -v[18:19]
	v_add_f64 v[2:3], v[2:3], v[18:19]
	v_add_f64 v[18:19], v[12:13], -v[16:17]
	v_add_f64 v[0:1], v[0:1], v[16:17]
	v_fma_f64 v[12:13], v[14:15], s[0:1], v[20:21]
	v_fma_f64 v[16:17], v[14:15], s[2:3], v[20:21]
	;; [unrolled: 1-line block ×4, first 2 shown]
	ds_read_b128 v[20:23], v176 offset:1792
	ds_read_b128 v[24:27], v176 offset:2688
	;; [unrolled: 1-line block ×4, first 2 shown]
	s_waitcnt lgkmcnt(0)
	s_barrier
	buffer_gl0_inv
	buffer_load_dword v84, off, s[36:39], 0 offset:696 ; 4-byte Folded Reload
	s_waitcnt vmcnt(0)
	ds_write_b128 v84, v[0:3]
	ds_write_b128 v84, v[12:15] offset:128
	ds_write_b128 v84, v[16:19] offset:256
	v_add_f64 v[0:1], v[36:37], v[60:61]
	v_add_f64 v[16:17], v[36:37], -v[60:61]
	v_fma_f64 v[12:13], v[0:1], -0.5, v[8:9]
	v_add_f64 v[0:1], v[38:39], v[62:63]
	v_add_f64 v[8:9], v[8:9], v[36:37]
	v_fma_f64 v[14:15], v[0:1], -0.5, v[10:11]
	v_add_f64 v[0:1], v[10:11], v[38:39]
	v_add_f64 v[10:11], v[38:39], -v[62:63]
	v_add_f64 v[2:3], v[0:1], v[62:63]
	v_add_f64 v[0:1], v[8:9], v[60:61]
	v_fma_f64 v[8:9], v[10:11], s[0:1], v[12:13]
	v_fma_f64 v[12:13], v[10:11], s[2:3], v[12:13]
	v_fma_f64 v[10:11], v[16:17], s[2:3], v[14:15]
	v_fma_f64 v[14:15], v[16:17], s[0:1], v[14:15]
	buffer_load_dword v16, off, s[36:39], 0 offset:692 ; 4-byte Folded Reload
	s_waitcnt vmcnt(0)
	ds_write_b128 v16, v[0:3]
	ds_write_b128 v16, v[8:11] offset:128
	ds_write_b128 v16, v[12:15] offset:256
	v_add_f64 v[0:1], v[40:41], v[64:65]
	v_add_f64 v[8:9], v[20:21], v[40:41]
	v_add_f64 v[12:13], v[42:43], -v[66:67]
	v_add_f64 v[16:17], v[40:41], -v[64:65]
	v_fma_f64 v[10:11], v[0:1], -0.5, v[20:21]
	v_add_f64 v[0:1], v[42:43], v[66:67]
	v_fma_f64 v[14:15], v[0:1], -0.5, v[22:23]
	v_add_f64 v[0:1], v[22:23], v[42:43]
	v_add_f64 v[2:3], v[0:1], v[66:67]
	v_add_f64 v[0:1], v[8:9], v[64:65]
	v_fma_f64 v[8:9], v[12:13], s[0:1], v[10:11]
	v_fma_f64 v[12:13], v[12:13], s[2:3], v[10:11]
	v_fma_f64 v[10:11], v[16:17], s[2:3], v[14:15]
	v_fma_f64 v[14:15], v[16:17], s[0:1], v[14:15]
	buffer_load_dword v16, off, s[36:39], 0 offset:688 ; 4-byte Folded Reload
	s_waitcnt vmcnt(0)
	ds_write_b128 v16, v[0:3]
	ds_write_b128 v16, v[8:11] offset:128
	ds_write_b128 v16, v[12:15] offset:256
	v_add_f64 v[0:1], v[44:45], v[68:69]
	v_add_f64 v[8:9], v[24:25], v[44:45]
	v_add_f64 v[12:13], v[46:47], -v[70:71]
	v_add_f64 v[16:17], v[44:45], -v[68:69]
	v_fma_f64 v[10:11], v[0:1], -0.5, v[24:25]
	v_add_f64 v[0:1], v[46:47], v[70:71]
	v_fma_f64 v[14:15], v[0:1], -0.5, v[26:27]
	v_add_f64 v[0:1], v[26:27], v[46:47]
	;; [unrolled: 19-line block ×4, first 2 shown]
	v_add_f64 v[2:3], v[0:1], v[78:79]
	v_add_f64 v[0:1], v[8:9], v[76:77]
	v_fma_f64 v[8:9], v[12:13], s[0:1], v[10:11]
	v_fma_f64 v[12:13], v[12:13], s[2:3], v[10:11]
	;; [unrolled: 1-line block ×4, first 2 shown]
	buffer_load_dword v16, off, s[36:39], 0 offset:596 ; 4-byte Folded Reload
	s_waitcnt vmcnt(0)
	ds_write_b128 v16, v[0:3]
	ds_write_b128 v16, v[8:11] offset:128
	ds_write_b128 v16, v[12:15] offset:256
	v_add_f64 v[0:1], v[56:57], v[80:81]
	v_add_f64 v[12:13], v[56:57], -v[80:81]
	v_fma_f64 v[8:9], v[0:1], -0.5, v[4:5]
	v_add_f64 v[0:1], v[58:59], v[82:83]
	v_add_f64 v[4:5], v[4:5], v[56:57]
	v_fma_f64 v[10:11], v[0:1], -0.5, v[6:7]
	v_add_f64 v[0:1], v[6:7], v[58:59]
	v_add_f64 v[6:7], v[58:59], -v[82:83]
	v_add_f64 v[2:3], v[0:1], v[82:83]
	v_add_f64 v[0:1], v[4:5], v[80:81]
	v_fma_f64 v[4:5], v[6:7], s[0:1], v[8:9]
	v_fma_f64 v[8:9], v[6:7], s[2:3], v[8:9]
	;; [unrolled: 1-line block ×4, first 2 shown]
	buffer_load_dword v12, off, s[36:39], 0 offset:592 ; 4-byte Folded Reload
	s_mov_b32 s0, 0x36b3c0b5
	s_mov_b32 s1, 0x3fac98ee
	;; [unrolled: 1-line block ×4, first 2 shown]
	s_waitcnt vmcnt(0)
	ds_write_b128 v12, v[0:3]
	ds_write_b128 v12, v[4:7] offset:128
	ds_write_b128 v12, v[8:11] offset:256
	s_waitcnt lgkmcnt(0)
	s_barrier
	buffer_gl0_inv
	ds_read_b128 v[80:83], v176 offset:2688
	ds_read_b128 v[0:3], v176 offset:1792
	s_clause 0x3
	buffer_load_dword v6, off, s[36:39], 0 offset:488
	buffer_load_dword v7, off, s[36:39], 0 offset:492
	buffer_load_dword v8, off, s[36:39], 0 offset:496
	buffer_load_dword v9, off, s[36:39], 0 offset:500
	s_waitcnt vmcnt(0) lgkmcnt(1)
	v_mul_f64 v[4:5], v[8:9], v[82:83]
	v_fma_f64 v[32:33], v[6:7], v[80:81], v[4:5]
	v_mul_f64 v[4:5], v[8:9], v[80:81]
	v_fma_f64 v[34:35], v[6:7], v[82:83], -v[4:5]
	ds_read_b128 v[4:7], v176 offset:5376
	ds_read_b128 v[8:11], v176 offset:6272
	s_clause 0x3
	buffer_load_dword v14, off, s[36:39], 0 offset:472
	buffer_load_dword v15, off, s[36:39], 0 offset:476
	buffer_load_dword v16, off, s[36:39], 0 offset:480
	buffer_load_dword v17, off, s[36:39], 0 offset:484
	s_waitcnt vmcnt(0) lgkmcnt(1)
	v_mul_f64 v[12:13], v[16:17], v[6:7]
	v_fma_f64 v[36:37], v[14:15], v[4:5], v[12:13]
	v_mul_f64 v[4:5], v[16:17], v[4:5]
	v_fma_f64 v[38:39], v[14:15], v[6:7], -v[4:5]
	;; [unrolled: 12-line block ×6, first 2 shown]
	ds_read_b128 v[4:7], v176 offset:3584
	ds_read_b128 v[28:31], v176 offset:4480
	s_clause 0x7
	buffer_load_dword v58, off, s[36:39], 0 offset:604
	buffer_load_dword v59, off, s[36:39], 0 offset:608
	buffer_load_dword v60, off, s[36:39], 0 offset:612
	buffer_load_dword v61, off, s[36:39], 0 offset:616
	buffer_load_dword v62, off, s[36:39], 0 offset:636
	buffer_load_dword v63, off, s[36:39], 0 offset:640
	buffer_load_dword v64, off, s[36:39], 0 offset:644
	buffer_load_dword v65, off, s[36:39], 0 offset:648
	s_waitcnt vmcnt(4) lgkmcnt(1)
	v_mul_f64 v[56:57], v[60:61], v[6:7]
	v_fma_f64 v[56:57], v[58:59], v[4:5], v[56:57]
	v_mul_f64 v[4:5], v[60:61], v[4:5]
	v_fma_f64 v[58:59], v[58:59], v[6:7], -v[4:5]
	s_waitcnt vmcnt(0)
	v_mul_f64 v[4:5], v[64:65], v[10:11]
	v_fma_f64 v[60:61], v[62:63], v[8:9], v[4:5]
	v_mul_f64 v[4:5], v[64:65], v[8:9]
	v_fma_f64 v[62:63], v[62:63], v[10:11], -v[4:5]
	ds_read_b128 v[4:7], v176 offset:8960
	ds_read_b128 v[8:11], v176 offset:9856
	s_waitcnt lgkmcnt(1)
	v_mul_f64 v[64:65], v[202:203], v[6:7]
	v_fma_f64 v[64:65], v[200:201], v[4:5], v[64:65]
	v_mul_f64 v[4:5], v[202:203], v[4:5]
	v_fma_f64 v[66:67], v[200:201], v[6:7], -v[4:5]
	v_mul_f64 v[4:5], v[206:207], v[18:19]
	v_fma_f64 v[68:69], v[204:205], v[16:17], v[4:5]
	v_mul_f64 v[4:5], v[206:207], v[16:17]
	v_fma_f64 v[70:71], v[204:205], v[18:19], -v[4:5]
	ds_read_b128 v[4:7], v176 offset:14336
	ds_read_b128 v[16:19], v176 offset:15232
	s_waitcnt lgkmcnt(1)
	v_mul_f64 v[72:73], v[214:215], v[6:7]
	v_fma_f64 v[72:73], v[212:213], v[4:5], v[72:73]
	v_mul_f64 v[4:5], v[214:215], v[4:5]
	v_fma_f64 v[74:75], v[212:213], v[6:7], -v[4:5]
	v_mul_f64 v[4:5], v[210:211], v[26:27]
	v_fma_f64 v[76:77], v[208:209], v[24:25], v[4:5]
	v_mul_f64 v[4:5], v[210:211], v[24:25]
	v_add_f64 v[24:25], v[34:35], v[54:55]
	v_add_f64 v[34:35], v[34:35], -v[54:55]
	v_fma_f64 v[78:79], v[208:209], v[26:27], -v[4:5]
	v_mul_f64 v[4:5], v[226:227], v[30:31]
	v_add_f64 v[26:27], v[42:43], v[46:47]
	v_fma_f64 v[80:81], v[224:225], v[28:29], v[4:5]
	v_mul_f64 v[4:5], v[226:227], v[28:29]
	v_add_f64 v[28:29], v[38:39], -v[50:51]
	v_fma_f64 v[82:83], v[224:225], v[30:31], -v[4:5]
	v_mul_f64 v[4:5], v[218:219], v[14:15]
	v_add_f64 v[30:31], v[46:47], -v[42:43]
	v_fma_f64 v[84:85], v[216:217], v[12:13], v[4:5]
	v_mul_f64 v[4:5], v[218:219], v[12:13]
	v_add_f64 v[12:13], v[36:37], v[48:49]
	v_add_f64 v[36:37], v[36:37], -v[48:49]
	v_fma_f64 v[86:87], v[216:217], v[14:15], -v[4:5]
	v_mul_f64 v[4:5], v[234:235], v[10:11]
	v_fma_f64 v[88:89], v[232:233], v[8:9], v[4:5]
	v_mul_f64 v[4:5], v[234:235], v[8:9]
	v_fma_f64 v[90:91], v[232:233], v[10:11], -v[4:5]
	v_mul_f64 v[4:5], v[222:223], v[22:23]
	v_fma_f64 v[92:93], v[220:221], v[20:21], v[4:5]
	v_mul_f64 v[4:5], v[222:223], v[20:21]
	v_add_f64 v[20:21], v[32:33], v[52:53]
	v_add_f64 v[32:33], v[32:33], -v[52:53]
	v_fma_f64 v[94:95], v[220:221], v[22:23], -v[4:5]
	s_waitcnt lgkmcnt(0)
	v_mul_f64 v[4:5], v[238:239], v[18:19]
	v_add_f64 v[22:23], v[40:41], v[44:45]
	v_fma_f64 v[100:101], v[236:237], v[16:17], v[4:5]
	v_mul_f64 v[4:5], v[238:239], v[16:17]
	v_add_f64 v[16:17], v[38:39], v[50:51]
	v_add_f64 v[38:39], v[44:45], -v[40:41]
	v_add_f64 v[40:41], v[12:13], -v[20:21]
	;; [unrolled: 1-line block ×3, first 2 shown]
	v_fma_f64 v[102:103], v[236:237], v[18:19], -v[4:5]
	ds_read_b128 v[4:7], v176 offset:17920
	v_add_f64 v[44:45], v[16:17], -v[24:25]
	v_add_f64 v[46:47], v[26:27], -v[16:17]
	;; [unrolled: 1-line block ×3, first 2 shown]
	s_waitcnt lgkmcnt(0)
	v_mul_f64 v[8:9], v[230:231], v[6:7]
	v_mul_f64 v[54:55], v[54:55], s[20:21]
	v_fma_f64 v[104:105], v[228:229], v[4:5], v[8:9]
	v_mul_f64 v[4:5], v[230:231], v[4:5]
	v_fma_f64 v[106:107], v[228:229], v[6:7], -v[4:5]
	v_add_f64 v[4:5], v[12:13], v[20:21]
	v_add_f64 v[12:13], v[30:31], -v[28:29]
	v_add_f64 v[20:21], v[20:21], -v[22:23]
	v_add_f64 v[14:15], v[22:23], v[4:5]
	v_add_f64 v[4:5], v[16:17], v[24:25]
	;; [unrolled: 1-line block ×3, first 2 shown]
	v_add_f64 v[28:29], v[28:29], -v[34:35]
	v_mul_f64 v[48:49], v[12:13], s[20:21]
	v_mul_f64 v[12:13], v[42:43], s[0:1]
	v_add_f64 v[22:23], v[24:25], -v[26:27]
	v_add_f64 v[30:31], v[34:35], -v[30:31]
	v_add_f64 v[18:19], v[26:27], v[4:5]
	ds_read_b128 v[4:7], v176
	ds_read_b128 v[8:11], v176 offset:896
	v_add_f64 v[110:111], v[16:17], v[34:35]
	v_mul_f64 v[34:35], v[20:21], s[14:15]
	v_mul_f64 v[20:21], v[28:29], s[4:5]
	v_fma_f64 v[12:13], v[40:41], s[24:25], -v[12:13]
	s_waitcnt lgkmcnt(0)
	s_barrier
	buffer_gl0_inv
	v_add_f64 v[4:5], v[4:5], v[14:15]
	v_add_f64 v[6:7], v[6:7], v[18:19]
	v_fma_f64 v[24:25], v[40:41], s[16:17], -v[34:35]
	v_fma_f64 v[20:21], v[30:31], s[18:19], -v[20:21]
	v_fma_f64 v[30:31], v[30:31], s[12:13], v[48:49]
	v_fma_f64 v[50:51], v[14:15], s[22:23], v[4:5]
	v_mul_f64 v[14:15], v[46:47], s[0:1]
	v_fma_f64 v[52:53], v[18:19], s[22:23], v[6:7]
	v_add_f64 v[18:19], v[38:39], v[36:37]
	v_add_f64 v[36:37], v[36:37], -v[32:33]
	v_add_f64 v[16:17], v[12:13], v[50:51]
	v_fma_f64 v[12:13], v[28:29], s[4:5], -v[48:49]
	v_add_f64 v[24:25], v[24:25], v[50:51]
	v_add_f64 v[108:109], v[18:19], v[32:33]
	v_add_f64 v[32:33], v[32:33], -v[38:39]
	v_mul_f64 v[38:39], v[22:23], s[14:15]
	v_mul_f64 v[22:23], v[36:37], s[4:5]
	v_fma_f64 v[28:29], v[110:111], s[2:3], v[20:21]
	v_fma_f64 v[14:15], v[44:45], s[24:25], -v[14:15]
	v_fma_f64 v[112:113], v[110:111], s[2:3], v[12:13]
	v_fma_f64 v[12:13], v[36:37], s[4:5], -v[54:55]
	v_fma_f64 v[26:27], v[44:45], s[16:17], -v[38:39]
	;; [unrolled: 1-line block ×3, first 2 shown]
	v_add_f64 v[20:21], v[28:29], v[24:25]
	v_add_f64 v[24:25], v[24:25], -v[28:29]
	v_fma_f64 v[28:29], v[42:43], s[0:1], v[34:35]
	v_fma_f64 v[34:35], v[46:47], s[0:1], v[38:39]
	;; [unrolled: 1-line block ×4, first 2 shown]
	v_add_f64 v[18:19], v[14:15], v[52:53]
	v_fma_f64 v[114:115], v[108:109], s[2:3], v[12:13]
	v_add_f64 v[12:13], v[16:17], -v[112:113]
	v_add_f64 v[16:17], v[112:113], v[16:17]
	v_add_f64 v[26:27], v[26:27], v[52:53]
	v_fma_f64 v[36:37], v[108:109], s[2:3], v[22:23]
	v_add_f64 v[34:35], v[34:35], v[52:53]
	v_fma_f64 v[40:41], v[108:109], s[2:3], v[32:33]
	v_add_f64 v[14:15], v[114:115], v[18:19]
	v_add_f64 v[18:19], v[18:19], -v[114:115]
	v_add_f64 v[22:23], v[26:27], -v[36:37]
	v_add_f64 v[26:27], v[36:37], v[26:27]
	v_add_f64 v[36:37], v[28:29], v[50:51]
	v_add_f64 v[30:31], v[34:35], -v[40:41]
	v_add_f64 v[34:35], v[40:41], v[34:35]
	v_add_f64 v[28:29], v[38:39], v[36:37]
	v_add_f64 v[32:33], v[36:37], -v[38:39]
	ds_write_b128 v142, v[4:7]
	ds_write_b128 v142, v[28:31] offset:384
	ds_write_b128 v142, v[20:23] offset:768
	;; [unrolled: 1-line block ×6, first 2 shown]
	v_add_f64 v[16:17], v[56:57], v[76:77]
	v_add_f64 v[12:13], v[60:61], v[72:73]
	;; [unrolled: 1-line block ×6, first 2 shown]
	v_add_f64 v[30:31], v[70:71], -v[66:67]
	v_add_f64 v[28:29], v[68:69], -v[64:65]
	;; [unrolled: 1-line block ×4, first 2 shown]
	v_add_f64 v[4:5], v[12:13], v[16:17]
	v_add_f64 v[36:37], v[18:19], -v[12:13]
	v_add_f64 v[38:39], v[12:13], -v[16:17]
	;; [unrolled: 1-line block ×5, first 2 shown]
	v_add_f64 v[14:15], v[18:19], v[4:5]
	v_add_f64 v[4:5], v[22:23], v[20:21]
	v_add_f64 v[18:19], v[20:21], -v[24:25]
	v_mul_f64 v[46:47], v[42:43], s[0:1]
	v_add_f64 v[26:27], v[24:25], v[4:5]
	v_add_f64 v[4:5], v[8:9], v[14:15]
	v_add_f64 v[8:9], v[60:61], -v[72:73]
	v_add_f64 v[24:25], v[32:33], -v[28:29]
	v_fma_f64 v[46:47], v[40:41], s[24:25], -v[46:47]
	v_add_f64 v[6:7], v[10:11], v[26:27]
	v_add_f64 v[10:11], v[62:63], -v[74:75]
	v_fma_f64 v[50:51], v[14:15], s[22:23], v[4:5]
	v_add_f64 v[14:15], v[28:29], v[8:9]
	v_add_f64 v[52:53], v[8:9], -v[32:33]
	v_fma_f64 v[26:27], v[26:27], s[22:23], v[6:7]
	v_add_f64 v[22:23], v[30:31], -v[10:11]
	v_add_f64 v[12:13], v[30:31], v[10:11]
	v_add_f64 v[44:45], v[10:11], -v[34:35]
	v_mul_f64 v[10:11], v[36:37], s[0:1]
	v_add_f64 v[54:55], v[14:15], v[32:33]
	v_mul_f64 v[32:33], v[18:19], s[14:15]
	v_mul_f64 v[18:19], v[52:53], s[4:5]
	v_add_f64 v[14:15], v[46:47], v[26:27]
	v_mul_f64 v[48:49], v[22:23], s[20:21]
	v_add_f64 v[22:23], v[28:29], -v[8:9]
	v_add_f64 v[56:57], v[12:13], v[34:35]
	v_fma_f64 v[10:11], v[38:39], s[24:25], -v[10:11]
	v_add_f64 v[28:29], v[34:35], -v[30:31]
	v_mul_f64 v[30:31], v[16:17], s[14:15]
	v_mul_f64 v[16:17], v[44:45], s[4:5]
	v_fma_f64 v[18:19], v[24:25], s[18:19], -v[18:19]
	v_fma_f64 v[8:9], v[44:45], s[4:5], -v[48:49]
	v_mul_f64 v[58:59], v[22:23], s[20:21]
	v_add_f64 v[12:13], v[10:11], v[50:51]
	v_fma_f64 v[20:21], v[38:39], s[16:17], -v[30:31]
	v_fma_f64 v[16:17], v[28:29], s[18:19], -v[16:17]
	v_fma_f64 v[30:31], v[36:37], s[0:1], v[30:31]
	v_fma_f64 v[28:29], v[28:29], s[12:13], v[48:49]
	v_fma_f64 v[38:39], v[54:55], s[2:3], v[18:19]
	v_fma_f64 v[22:23], v[56:57], s[2:3], v[8:9]
	v_fma_f64 v[8:9], v[52:53], s[4:5], -v[58:59]
	v_fma_f64 v[24:25], v[24:25], s[12:13], v[58:59]
	v_add_f64 v[20:21], v[20:21], v[50:51]
	v_fma_f64 v[34:35], v[56:57], s[2:3], v[16:17]
	v_add_f64 v[30:31], v[30:31], v[50:51]
	v_fma_f64 v[28:29], v[56:57], s[2:3], v[28:29]
	v_fma_f64 v[46:47], v[54:55], s[2:3], v[8:9]
	v_add_f64 v[8:9], v[12:13], -v[22:23]
	v_add_f64 v[12:13], v[22:23], v[12:13]
	v_fma_f64 v[22:23], v[40:41], s[16:17], -v[32:33]
	v_fma_f64 v[32:33], v[42:43], s[0:1], v[32:33]
	v_add_f64 v[16:17], v[34:35], v[20:21]
	v_add_f64 v[20:21], v[20:21], -v[34:35]
	v_fma_f64 v[34:35], v[54:55], s[2:3], v[24:25]
	v_add_f64 v[24:25], v[28:29], v[30:31]
	v_add_f64 v[28:29], v[30:31], -v[28:29]
	v_add_f64 v[10:11], v[46:47], v[14:15]
	v_add_f64 v[14:15], v[14:15], -v[46:47]
	v_add_f64 v[22:23], v[22:23], v[26:27]
	v_add_f64 v[32:33], v[32:33], v[26:27]
	v_add_f64 v[18:19], v[22:23], -v[38:39]
	v_add_f64 v[26:27], v[32:33], -v[34:35]
	v_add_f64 v[22:23], v[38:39], v[22:23]
	v_add_f64 v[30:31], v[34:35], v[32:33]
	ds_write_b128 v143, v[4:7]
	ds_write_b128 v143, v[24:27] offset:384
	ds_write_b128 v143, v[16:19] offset:768
	;; [unrolled: 1-line block ×6, first 2 shown]
	v_add_f64 v[12:13], v[80:81], v[104:105]
	v_add_f64 v[4:5], v[84:85], v[100:101]
	;; [unrolled: 1-line block ×6, first 2 shown]
	v_add_f64 v[24:25], v[86:87], -v[102:103]
	v_add_f64 v[26:27], v[94:95], -v[90:91]
	;; [unrolled: 1-line block ×6, first 2 shown]
	v_add_f64 v[6:7], v[4:5], v[12:13]
	v_add_f64 v[32:33], v[14:15], -v[4:5]
	v_add_f64 v[34:35], v[4:5], -v[12:13]
	v_add_f64 v[10:11], v[8:9], v[16:17]
	v_add_f64 v[36:37], v[8:9], -v[16:17]
	v_add_f64 v[38:39], v[18:19], -v[8:9]
	v_add_f64 v[8:9], v[26:27], -v[24:25]
	v_add_f64 v[4:5], v[26:27], v[24:25]
	v_add_f64 v[12:13], v[12:13], -v[14:15]
	;; [unrolled: 4-line block ×3, first 2 shown]
	v_mul_f64 v[40:41], v[32:33], s[0:1]
	v_add_f64 v[10:11], v[18:19], v[10:11]
	v_mul_f64 v[42:43], v[38:39], s[0:1]
	v_mul_f64 v[44:45], v[8:9], s[20:21]
	v_add_f64 v[8:9], v[22:23], -v[20:21]
	v_add_f64 v[52:53], v[4:5], v[30:31]
	v_add_f64 v[0:1], v[0:1], v[6:7]
	v_mul_f64 v[30:31], v[14:15], s[14:15]
	v_fma_f64 v[40:41], v[34:35], s[24:25], -v[40:41]
	v_add_f64 v[2:3], v[2:3], v[10:11]
	v_fma_f64 v[42:43], v[36:37], s[24:25], -v[42:43]
	v_fma_f64 v[4:5], v[24:25], s[4:5], -v[44:45]
	v_mul_f64 v[54:55], v[8:9], s[20:21]
	v_fma_f64 v[46:47], v[6:7], s[22:23], v[0:1]
	v_add_f64 v[6:7], v[22:23], v[20:21]
	v_add_f64 v[20:21], v[20:21], -v[28:29]
	v_add_f64 v[22:23], v[28:29], -v[22:23]
	v_fma_f64 v[48:49], v[10:11], s[22:23], v[2:3]
	v_fma_f64 v[18:19], v[36:37], s[16:17], -v[30:31]
	v_add_f64 v[8:9], v[40:41], v[46:47]
	v_add_f64 v[50:51], v[6:7], v[28:29]
	v_mul_f64 v[28:29], v[12:13], s[14:15]
	v_mul_f64 v[12:13], v[24:25], s[4:5]
	;; [unrolled: 1-line block ×3, first 2 shown]
	v_fma_f64 v[40:41], v[52:53], s[2:3], v[4:5]
	v_fma_f64 v[4:5], v[20:21], s[4:5], -v[54:55]
	v_add_f64 v[18:19], v[18:19], v[48:49]
	v_add_f64 v[10:11], v[42:43], v[48:49]
	v_fma_f64 v[16:17], v[34:35], s[16:17], -v[28:29]
	v_fma_f64 v[12:13], v[26:27], s[18:19], -v[12:13]
	v_fma_f64 v[14:15], v[22:23], s[18:19], -v[14:15]
	v_fma_f64 v[26:27], v[26:27], s[12:13], v[44:45]
	v_fma_f64 v[22:23], v[22:23], s[12:13], v[54:55]
	;; [unrolled: 1-line block ×3, first 2 shown]
	v_add_f64 v[4:5], v[8:9], -v[40:41]
	v_add_f64 v[8:9], v[40:41], v[8:9]
	v_add_f64 v[16:17], v[16:17], v[46:47]
	v_fma_f64 v[20:21], v[52:53], s[2:3], v[12:13]
	v_fma_f64 v[24:25], v[50:51], s[2:3], v[14:15]
	v_add_f64 v[6:7], v[42:43], v[10:11]
	v_add_f64 v[10:11], v[10:11], -v[42:43]
	v_add_f64 v[12:13], v[20:21], v[16:17]
	v_add_f64 v[14:15], v[18:19], -v[24:25]
	v_add_f64 v[16:17], v[16:17], -v[20:21]
	v_add_f64 v[18:19], v[24:25], v[18:19]
	v_fma_f64 v[20:21], v[32:33], s[0:1], v[28:29]
	v_fma_f64 v[24:25], v[38:39], s[0:1], v[30:31]
	v_add_f64 v[28:29], v[20:21], v[46:47]
	v_add_f64 v[30:31], v[24:25], v[48:49]
	v_fma_f64 v[24:25], v[52:53], s[2:3], v[26:27]
	v_fma_f64 v[26:27], v[50:51], s[2:3], v[22:23]
	v_add_f64 v[20:21], v[24:25], v[28:29]
	v_add_f64 v[22:23], v[30:31], -v[26:27]
	v_add_f64 v[24:25], v[28:29], -v[24:25]
	v_add_f64 v[26:27], v[26:27], v[30:31]
	ds_write_b128 v179, v[0:3]
	ds_write_b128 v179, v[20:23] offset:384
	ds_write_b128 v179, v[12:15] offset:768
	;; [unrolled: 1-line block ×6, first 2 shown]
	s_waitcnt lgkmcnt(0)
	s_barrier
	buffer_gl0_inv
	ds_read_b128 v[80:83], v176 offset:2688
	ds_read_b128 v[0:3], v176 offset:1792
	s_clause 0x3
	buffer_load_dword v6, off, s[36:39], 0 offset:544
	buffer_load_dword v7, off, s[36:39], 0 offset:548
	;; [unrolled: 1-line block ×4, first 2 shown]
	s_waitcnt vmcnt(0) lgkmcnt(1)
	v_mul_f64 v[4:5], v[8:9], v[82:83]
	v_fma_f64 v[32:33], v[6:7], v[80:81], v[4:5]
	v_mul_f64 v[4:5], v[8:9], v[80:81]
	v_fma_f64 v[34:35], v[6:7], v[82:83], -v[4:5]
	ds_read_b128 v[4:7], v176 offset:5376
	ds_read_b128 v[8:11], v176 offset:6272
	s_clause 0x3
	buffer_load_dword v14, off, s[36:39], 0 offset:576
	buffer_load_dword v15, off, s[36:39], 0 offset:580
	;; [unrolled: 1-line block ×4, first 2 shown]
	s_waitcnt vmcnt(0) lgkmcnt(1)
	v_mul_f64 v[12:13], v[16:17], v[6:7]
	v_fma_f64 v[36:37], v[14:15], v[4:5], v[12:13]
	v_mul_f64 v[4:5], v[16:17], v[4:5]
	v_fma_f64 v[38:39], v[14:15], v[6:7], -v[4:5]
	ds_read_b128 v[4:7], v176 offset:16128
	ds_read_b128 v[12:15], v176 offset:17024
	s_waitcnt lgkmcnt(1)
	v_mul_f64 v[16:17], v[182:183], v[6:7]
	v_fma_f64 v[40:41], v[180:181], v[4:5], v[16:17]
	v_mul_f64 v[4:5], v[182:183], v[4:5]
	v_fma_f64 v[42:43], v[180:181], v[6:7], -v[4:5]
	ds_read_b128 v[4:7], v176 offset:13440
	ds_read_b128 v[16:19], v176 offset:12544
	s_waitcnt lgkmcnt(1)
	v_mul_f64 v[20:21], v[158:159], v[6:7]
	v_fma_f64 v[44:45], v[156:157], v[4:5], v[20:21]
	v_mul_f64 v[4:5], v[158:159], v[4:5]
	v_fma_f64 v[46:47], v[156:157], v[6:7], -v[4:5]
	ds_read_b128 v[4:7], v176 offset:8064
	ds_read_b128 v[20:23], v176 offset:7168
	s_clause 0x3
	buffer_load_dword v26, off, s[36:39], 0 offset:700
	buffer_load_dword v27, off, s[36:39], 0 offset:704
	;; [unrolled: 1-line block ×4, first 2 shown]
	s_waitcnt vmcnt(0) lgkmcnt(1)
	v_mul_f64 v[24:25], v[28:29], v[6:7]
	v_fma_f64 v[48:49], v[26:27], v[4:5], v[24:25]
	v_mul_f64 v[4:5], v[28:29], v[4:5]
	v_fma_f64 v[50:51], v[26:27], v[6:7], -v[4:5]
	ds_read_b128 v[4:7], v176 offset:10752
	ds_read_b128 v[24:27], v176 offset:11648
	s_clause 0x3
	buffer_load_dword v54, off, s[36:39], 0 offset:560
	buffer_load_dword v55, off, s[36:39], 0 offset:564
	;; [unrolled: 1-line block ×4, first 2 shown]
	s_waitcnt vmcnt(0) lgkmcnt(1)
	v_mul_f64 v[28:29], v[56:57], v[6:7]
	v_fma_f64 v[52:53], v[54:55], v[4:5], v[28:29]
	v_mul_f64 v[4:5], v[56:57], v[4:5]
	v_fma_f64 v[54:55], v[54:55], v[6:7], -v[4:5]
	ds_read_b128 v[4:7], v176 offset:3584
	ds_read_b128 v[28:31], v176 offset:4480
	s_waitcnt lgkmcnt(1)
	v_mul_f64 v[56:57], v[162:163], v[6:7]
	v_fma_f64 v[56:57], v[160:161], v[4:5], v[56:57]
	v_mul_f64 v[4:5], v[162:163], v[4:5]
	v_fma_f64 v[58:59], v[160:161], v[6:7], -v[4:5]
	v_mul_f64 v[4:5], v[170:171], v[10:11]
	v_fma_f64 v[60:61], v[168:169], v[8:9], v[4:5]
	v_mul_f64 v[4:5], v[170:171], v[8:9]
	v_fma_f64 v[62:63], v[168:169], v[10:11], -v[4:5]
	ds_read_b128 v[4:7], v176 offset:8960
	ds_read_b128 v[8:11], v176 offset:9856
	s_waitcnt lgkmcnt(1)
	v_mul_f64 v[64:65], v[154:155], v[6:7]
	v_fma_f64 v[64:65], v[152:153], v[4:5], v[64:65]
	v_mul_f64 v[4:5], v[154:155], v[4:5]
	v_fma_f64 v[66:67], v[152:153], v[6:7], -v[4:5]
	v_mul_f64 v[4:5], v[146:147], v[26:27]
	v_fma_f64 v[68:69], v[144:145], v[24:25], v[4:5]
	v_mul_f64 v[4:5], v[146:147], v[24:25]
	v_add_f64 v[112:113], v[64:65], v[68:69]
	v_fma_f64 v[70:71], v[144:145], v[26:27], -v[4:5]
	ds_read_b128 v[4:7], v176 offset:14336
	ds_read_b128 v[24:27], v176 offset:15232
	s_waitcnt lgkmcnt(1)
	v_mul_f64 v[72:73], v[98:99], v[6:7]
	v_add_f64 v[120:121], v[66:67], v[70:71]
	v_fma_f64 v[72:73], v[96:97], v[4:5], v[72:73]
	v_mul_f64 v[4:5], v[98:99], v[4:5]
	v_fma_f64 v[74:75], v[96:97], v[6:7], -v[4:5]
	v_mul_f64 v[4:5], v[166:167], v[14:15]
	v_add_f64 v[118:119], v[62:63], v[74:75]
	v_fma_f64 v[76:77], v[164:165], v[12:13], v[4:5]
	v_mul_f64 v[4:5], v[166:167], v[12:13]
	v_fma_f64 v[78:79], v[164:165], v[14:15], -v[4:5]
	v_mul_f64 v[4:5], v[186:187], v[30:31]
	v_add_f64 v[116:117], v[58:59], v[78:79]
	v_fma_f64 v[80:81], v[184:185], v[28:29], v[4:5]
	v_mul_f64 v[4:5], v[186:187], v[28:29]
	v_add_f64 v[28:29], v[38:39], -v[46:47]
	v_add_f64 v[122:123], v[118:119], v[116:117]
	v_fma_f64 v[82:83], v[184:185], v[30:31], -v[4:5]
	v_mul_f64 v[4:5], v[190:191], v[22:23]
	v_add_f64 v[30:31], v[54:55], -v[50:51]
	v_add_f64 v[122:123], v[120:121], v[122:123]
	v_fma_f64 v[84:85], v[188:189], v[20:21], v[4:5]
	v_mul_f64 v[4:5], v[190:191], v[20:21]
	v_add_f64 v[20:21], v[32:33], v[40:41]
	v_add_f64 v[32:33], v[32:33], -v[40:41]
	v_add_f64 v[40:41], v[30:31], -v[28:29]
	v_fma_f64 v[86:87], v[188:189], v[22:23], -v[4:5]
	s_waitcnt lgkmcnt(0)
	v_mul_f64 v[4:5], v[198:199], v[26:27]
	v_add_f64 v[22:23], v[48:49], v[52:53]
	v_mul_f64 v[40:41], v[40:41], s[20:21]
	v_fma_f64 v[88:89], v[196:197], v[24:25], v[4:5]
	v_mul_f64 v[4:5], v[198:199], v[24:25]
	v_add_f64 v[24:25], v[34:35], v[42:43]
	v_add_f64 v[34:35], v[34:35], -v[42:43]
	v_add_f64 v[126:127], v[84:85], v[88:89]
	v_fma_f64 v[90:91], v[196:197], v[26:27], -v[4:5]
	ds_read_b128 v[4:7], v176 offset:17920
	v_add_f64 v[26:27], v[50:51], v[54:55]
	v_add_f64 v[42:43], v[28:29], -v[34:35]
	v_add_f64 v[28:29], v[30:31], v[28:29]
	v_add_f64 v[30:31], v[34:35], -v[30:31]
	s_waitcnt lgkmcnt(0)
	v_mul_f64 v[12:13], v[194:195], v[6:7]
	v_add_f64 v[134:135], v[86:87], v[90:91]
	v_add_f64 v[28:29], v[28:29], v[34:35]
	v_fma_f64 v[92:93], v[192:193], v[4:5], v[12:13]
	v_mul_f64 v[4:5], v[194:195], v[4:5]
	v_add_f64 v[12:13], v[36:37], v[44:45]
	v_add_f64 v[36:37], v[36:37], -v[44:45]
	v_add_f64 v[124:125], v[80:81], v[92:93]
	v_fma_f64 v[94:95], v[192:193], v[6:7], -v[4:5]
	v_mul_f64 v[4:5], v[174:175], v[10:11]
	v_add_f64 v[44:45], v[22:23], -v[12:13]
	v_add_f64 v[130:131], v[126:127], v[124:125]
	v_add_f64 v[132:133], v[82:83], v[94:95]
	v_fma_f64 v[96:97], v[172:173], v[8:9], v[4:5]
	v_mul_f64 v[4:5], v[174:175], v[8:9]
	v_add_f64 v[138:139], v[134:135], v[132:133]
	v_fma_f64 v[98:99], v[172:173], v[10:11], -v[4:5]
	v_mul_f64 v[4:5], v[150:151], v[18:19]
	v_fma_f64 v[100:101], v[148:149], v[16:17], v[4:5]
	v_mul_f64 v[4:5], v[150:151], v[16:17]
	v_add_f64 v[16:17], v[38:39], v[46:47]
	v_add_f64 v[38:39], v[52:53], -v[48:49]
	v_add_f64 v[46:47], v[12:13], -v[20:21]
	v_add_f64 v[128:129], v[96:97], v[100:101]
	v_fma_f64 v[102:103], v[148:149], v[18:19], -v[4:5]
	v_add_f64 v[4:5], v[12:13], v[20:21]
	v_mul_f64 v[12:13], v[44:45], s[0:1]
	v_add_f64 v[48:49], v[26:27], -v[16:17]
	v_add_f64 v[50:51], v[16:17], -v[24:25]
	;; [unrolled: 1-line block ×3, first 2 shown]
	v_add_f64 v[130:131], v[128:129], v[130:131]
	v_add_f64 v[136:137], v[98:99], v[102:103]
	;; [unrolled: 1-line block ×4, first 2 shown]
	v_fma_f64 v[12:13], v[46:47], s[24:25], -v[12:13]
	v_add_f64 v[16:17], v[38:39], -v[36:37]
	v_mul_f64 v[34:35], v[20:21], s[14:15]
	v_mul_f64 v[20:21], v[42:43], s[4:5]
	v_add_f64 v[22:23], v[24:25], -v[26:27]
	v_add_f64 v[0:1], v[0:1], v[130:131]
	v_add_f64 v[138:139], v[136:137], v[138:139]
	;; [unrolled: 1-line block ×3, first 2 shown]
	ds_read_b128 v[4:7], v176
	ds_read_b128 v[8:11], v176 offset:896
	v_mul_f64 v[104:105], v[16:17], s[20:21]
	v_fma_f64 v[24:25], v[46:47], s[16:17], -v[34:35]
	v_fma_f64 v[20:21], v[30:31], s[18:19], -v[20:21]
	v_fma_f64 v[34:35], v[44:45], s[0:1], v[34:35]
	v_fma_f64 v[30:31], v[30:31], s[12:13], v[40:41]
	v_add_f64 v[44:45], v[70:71], -v[66:67]
	v_add_f64 v[46:47], v[68:69], -v[64:65]
	s_waitcnt lgkmcnt(1)
	v_add_f64 v[4:5], v[4:5], v[14:15]
	s_waitcnt lgkmcnt(0)
	v_add_f64 v[10:11], v[10:11], v[122:123]
	v_add_f64 v[6:7], v[6:7], v[18:19]
	;; [unrolled: 1-line block ×3, first 2 shown]
	v_fma_f64 v[52:53], v[14:15], s[22:23], v[4:5]
	v_mul_f64 v[14:15], v[48:49], s[0:1]
	v_fma_f64 v[54:55], v[18:19], s[22:23], v[6:7]
	v_add_f64 v[18:19], v[38:39], v[36:37]
	v_add_f64 v[36:37], v[36:37], -v[32:33]
	v_fma_f64 v[66:67], v[122:123], s[22:23], v[10:11]
	v_add_f64 v[16:17], v[12:13], v[52:53]
	v_fma_f64 v[12:13], v[42:43], s[4:5], -v[40:41]
	v_fma_f64 v[14:15], v[50:51], s[24:25], -v[14:15]
	v_add_f64 v[106:107], v[18:19], v[32:33]
	v_add_f64 v[32:33], v[32:33], -v[38:39]
	v_mul_f64 v[38:39], v[22:23], s[14:15]
	v_mul_f64 v[22:23], v[36:37], s[4:5]
	v_add_f64 v[24:25], v[24:25], v[52:53]
	v_add_f64 v[34:35], v[34:35], v[52:53]
	v_fma_f64 v[108:109], v[28:29], s[2:3], v[12:13]
	v_fma_f64 v[12:13], v[36:37], s[4:5], -v[104:105]
	v_add_f64 v[18:19], v[14:15], v[54:55]
	v_fma_f64 v[36:37], v[28:29], s[2:3], v[20:21]
	v_fma_f64 v[26:27], v[50:51], s[16:17], -v[38:39]
	v_fma_f64 v[22:23], v[32:33], s[18:19], -v[22:23]
	v_fma_f64 v[32:33], v[32:33], s[12:13], v[104:105]
	v_add_f64 v[50:51], v[58:59], -v[78:79]
	v_add_f64 v[58:59], v[120:121], -v[118:119]
	v_fma_f64 v[110:111], v[106:107], s[2:3], v[12:13]
	v_add_f64 v[12:13], v[16:17], -v[108:109]
	v_add_f64 v[16:17], v[108:109], v[16:17]
	v_add_f64 v[108:109], v[56:57], v[76:77]
	;; [unrolled: 1-line block ×3, first 2 shown]
	v_add_f64 v[24:25], v[24:25], -v[36:37]
	v_fma_f64 v[36:37], v[48:49], s[0:1], v[38:39]
	v_fma_f64 v[38:39], v[28:29], s[2:3], v[30:31]
	;; [unrolled: 1-line block ×3, first 2 shown]
	v_add_f64 v[26:27], v[26:27], v[54:55]
	v_fma_f64 v[42:43], v[106:107], s[2:3], v[22:23]
	v_add_f64 v[48:49], v[56:57], -v[76:77]
	v_add_f64 v[56:57], v[118:119], -v[116:117]
	;; [unrolled: 1-line block ×3, first 2 shown]
	v_add_f64 v[14:15], v[110:111], v[18:19]
	v_add_f64 v[18:19], v[18:19], -v[110:111]
	v_add_f64 v[110:111], v[60:61], v[72:73]
	v_add_f64 v[36:37], v[36:37], v[54:55]
	;; [unrolled: 1-line block ×3, first 2 shown]
	v_add_f64 v[32:33], v[34:35], -v[38:39]
	v_add_f64 v[38:39], v[60:61], -v[72:73]
	;; [unrolled: 1-line block ×3, first 2 shown]
	v_add_f64 v[26:27], v[42:43], v[26:27]
	v_add_f64 v[104:105], v[48:49], -v[46:47]
	v_add_f64 v[114:115], v[110:111], v[108:109]
	v_add_f64 v[54:55], v[112:113], -v[110:111]
	v_add_f64 v[52:53], v[110:111], -v[108:109]
	v_add_f64 v[30:31], v[36:37], -v[40:41]
	v_add_f64 v[34:35], v[40:41], v[36:37]
	v_add_f64 v[36:37], v[62:63], -v[74:75]
	v_add_f64 v[70:71], v[46:47], -v[38:39]
	v_add_f64 v[68:69], v[46:47], v[38:39]
	v_add_f64 v[72:73], v[38:39], -v[48:49]
	v_add_f64 v[114:115], v[112:113], v[114:115]
	v_add_f64 v[40:41], v[44:45], -v[36:37]
	v_add_f64 v[42:43], v[44:45], v[36:37]
	v_add_f64 v[60:61], v[36:37], -v[50:51]
	v_mul_f64 v[36:37], v[54:55], s[0:1]
	v_mul_f64 v[70:71], v[70:71], s[20:21]
	v_add_f64 v[68:69], v[68:69], v[48:49]
	v_mul_f64 v[46:47], v[72:73], s[4:5]
	v_add_f64 v[8:9], v[8:9], v[114:115]
	v_mul_f64 v[62:63], v[40:41], s[20:21]
	v_mul_f64 v[40:41], v[58:59], s[0:1]
	v_add_f64 v[74:75], v[42:43], v[50:51]
	v_fma_f64 v[36:37], v[52:53], s[24:25], -v[36:37]
	v_mul_f64 v[44:45], v[60:61], s[4:5]
	v_fma_f64 v[46:47], v[104:105], s[18:19], -v[46:47]
	v_fma_f64 v[64:65], v[114:115], s[22:23], v[8:9]
	v_fma_f64 v[40:41], v[56:57], s[24:25], -v[40:41]
	v_fma_f64 v[44:45], v[106:107], s[18:19], -v[44:45]
	v_add_f64 v[42:43], v[36:37], v[64:65]
	v_fma_f64 v[36:37], v[60:61], s[4:5], -v[62:63]
	v_add_f64 v[76:77], v[40:41], v[66:67]
	v_fma_f64 v[40:41], v[74:75], s[2:3], v[36:37]
	v_fma_f64 v[36:37], v[72:73], s[4:5], -v[70:71]
	v_add_f64 v[72:73], v[82:83], -v[94:95]
	v_add_f64 v[82:83], v[134:135], -v[132:133]
	v_fma_f64 v[78:79], v[68:69], s[2:3], v[36:37]
	v_add_f64 v[36:37], v[42:43], -v[40:41]
	v_add_f64 v[40:41], v[40:41], v[42:43]
	v_add_f64 v[38:39], v[78:79], v[76:77]
	v_add_f64 v[42:43], v[76:77], -v[78:79]
	v_add_f64 v[76:77], v[108:109], -v[112:113]
	;; [unrolled: 1-line block ×3, first 2 shown]
	v_mul_f64 v[76:77], v[76:77], s[14:15]
	v_mul_f64 v[78:79], v[78:79], s[14:15]
	v_fma_f64 v[48:49], v[52:53], s[16:17], -v[76:77]
	v_fma_f64 v[50:51], v[56:57], s[16:17], -v[78:79]
	v_fma_f64 v[52:53], v[74:75], s[2:3], v[44:45]
	v_fma_f64 v[56:57], v[68:69], s[2:3], v[46:47]
	v_add_f64 v[48:49], v[48:49], v[64:65]
	v_add_f64 v[50:51], v[50:51], v[66:67]
	;; [unrolled: 1-line block ×3, first 2 shown]
	v_add_f64 v[46:47], v[50:51], -v[56:57]
	v_add_f64 v[48:49], v[48:49], -v[52:53]
	v_add_f64 v[50:51], v[56:57], v[50:51]
	v_fma_f64 v[52:53], v[54:55], s[0:1], v[76:77]
	v_fma_f64 v[56:57], v[106:107], s[12:13], v[62:63]
	;; [unrolled: 1-line block ×4, first 2 shown]
	v_add_f64 v[70:71], v[100:101], -v[96:97]
	v_add_f64 v[76:77], v[128:129], -v[126:127]
	;; [unrolled: 1-line block ×3, first 2 shown]
	v_add_f64 v[60:61], v[52:53], v[64:65]
	v_fma_f64 v[56:57], v[74:75], s[2:3], v[56:57]
	v_add_f64 v[62:63], v[54:55], v[66:67]
	v_fma_f64 v[58:59], v[68:69], s[2:3], v[58:59]
	v_add_f64 v[68:69], v[102:103], -v[98:99]
	v_add_f64 v[74:75], v[80:81], -v[92:93]
	;; [unrolled: 1-line block ×3, first 2 shown]
	v_add_f64 v[52:53], v[56:57], v[60:61]
	v_add_f64 v[56:57], v[60:61], -v[56:57]
	v_add_f64 v[60:61], v[86:87], -v[90:91]
	;; [unrolled: 1-line block ×3, first 2 shown]
	v_add_f64 v[58:59], v[58:59], v[62:63]
	v_add_f64 v[62:63], v[84:85], -v[88:89]
	v_mul_f64 v[66:67], v[80:81], s[0:1]
	v_fma_f64 v[88:89], v[130:131], s[22:23], v[0:1]
	v_fma_f64 v[90:91], v[138:139], s[22:23], v[2:3]
	v_add_f64 v[104:105], v[74:75], -v[70:71]
	v_add_f64 v[106:107], v[72:73], -v[68:69]
	v_add_f64 v[64:65], v[68:69], -v[60:61]
	v_add_f64 v[84:85], v[60:61], -v[72:73]
	v_add_f64 v[60:61], v[68:69], v[60:61]
	v_add_f64 v[92:93], v[70:71], -v[62:63]
	v_add_f64 v[94:95], v[70:71], v[62:63]
	v_add_f64 v[96:97], v[62:63], -v[74:75]
	v_fma_f64 v[66:67], v[82:83], s[24:25], -v[66:67]
	v_mul_f64 v[86:87], v[64:65], s[20:21]
	v_mul_f64 v[64:65], v[76:77], s[0:1]
	v_add_f64 v[98:99], v[60:61], v[72:73]
	v_mul_f64 v[92:93], v[92:93], s[20:21]
	v_add_f64 v[94:95], v[94:95], v[74:75]
	v_mul_f64 v[68:69], v[84:85], s[4:5]
	v_add_f64 v[66:67], v[66:67], v[90:91]
	v_mul_f64 v[70:71], v[96:97], s[4:5]
	v_fma_f64 v[60:61], v[84:85], s[4:5], -v[86:87]
	v_fma_f64 v[64:65], v[78:79], s[24:25], -v[64:65]
	;; [unrolled: 1-line block ×4, first 2 shown]
	v_fma_f64 v[100:101], v[98:99], s[2:3], v[60:61]
	v_fma_f64 v[60:61], v[96:97], s[4:5], -v[92:93]
	v_add_f64 v[64:65], v[64:65], v[88:89]
	v_fma_f64 v[102:103], v[94:95], s[2:3], v[60:61]
	v_add_f64 v[60:61], v[64:65], -v[100:101]
	v_add_f64 v[64:65], v[100:101], v[64:65]
	v_add_f64 v[100:101], v[124:125], -v[128:129]
	v_add_f64 v[62:63], v[102:103], v[66:67]
	v_add_f64 v[66:67], v[66:67], -v[102:103]
	v_add_f64 v[102:103], v[132:133], -v[136:137]
	v_mul_f64 v[100:101], v[100:101], s[14:15]
	v_mul_f64 v[102:103], v[102:103], s[14:15]
	v_fma_f64 v[72:73], v[78:79], s[16:17], -v[100:101]
	v_fma_f64 v[78:79], v[98:99], s[2:3], v[68:69]
	v_fma_f64 v[76:77], v[76:77], s[0:1], v[100:101]
	v_fma_f64 v[74:75], v[82:83], s[16:17], -v[102:103]
	v_add_f64 v[72:73], v[72:73], v[88:89]
	v_fma_f64 v[82:83], v[94:95], s[2:3], v[70:71]
	v_add_f64 v[84:85], v[76:77], v[88:89]
	v_add_f64 v[74:75], v[74:75], v[90:91]
	;; [unrolled: 1-line block ×3, first 2 shown]
	v_add_f64 v[72:73], v[72:73], -v[78:79]
	v_fma_f64 v[78:79], v[80:81], s[0:1], v[102:103]
	v_fma_f64 v[80:81], v[106:107], s[12:13], v[86:87]
	s_mul_hi_u32 s1, s8, 0x24c
	v_add_f64 v[70:71], v[74:75], -v[82:83]
	v_add_f64 v[74:75], v[82:83], v[74:75]
	v_fma_f64 v[82:83], v[104:105], s[12:13], v[92:93]
	v_add_f64 v[86:87], v[78:79], v[90:91]
	v_fma_f64 v[80:81], v[98:99], s[2:3], v[80:81]
	v_fma_f64 v[82:83], v[94:95], s[2:3], v[82:83]
	s_mov_b32 s2, 0x899406f7
	v_add_f64 v[76:77], v[80:81], v[84:85]
	v_add_f64 v[80:81], v[84:85], -v[80:81]
	s_mov_b32 s3, 0x3f4bdd2b
	v_add_f64 v[78:79], v[86:87], -v[82:83]
	v_add_f64 v[82:83], v[82:83], v[86:87]
	ds_write_b128 v176, v[4:7]
	ds_write_b128 v176, v[28:31] offset:2688
	ds_write_b128 v176, v[20:23] offset:5376
	;; [unrolled: 1-line block ×20, first 2 shown]
	s_waitcnt lgkmcnt(0)
	s_barrier
	buffer_gl0_inv
	ds_read_b128 v[0:3], v176
	ds_read_b128 v[4:7], v176 offset:896
	s_clause 0x3
	buffer_load_dword v18, off, s[36:39], 0 offset:356
	buffer_load_dword v19, off, s[36:39], 0 offset:360
	;; [unrolled: 1-line block ×4, first 2 shown]
	ds_read_b128 v[8:11], v176 offset:9408
	s_clause 0x1
	buffer_load_dword v16, off, s[36:39], 0 offset:36
	buffer_load_dword v17, off, s[36:39], 0 offset:40
	v_mad_u64_u32 v[22:23], null, s8, v140, 0
	s_waitcnt vmcnt(2) lgkmcnt(2)
	v_mul_f64 v[12:13], v[20:21], v[2:3]
	v_mul_f64 v[14:15], v[20:21], v[0:1]
	s_waitcnt vmcnt(0)
	v_mov_b32_e32 v17, v16
	v_mad_u64_u32 v[20:21], null, s10, v17, 0
	v_mov_b32_e32 v16, v21
	v_mad_u64_u32 v[16:17], null, s11, v17, v[16:17]
	v_fma_f64 v[0:1], v[18:19], v[0:1], v[12:13]
	v_fma_f64 v[2:3], v[18:19], v[2:3], -v[14:15]
	ds_read_b128 v[12:15], v176 offset:10304
	s_clause 0x3
	buffer_load_dword v33, off, s[36:39], 0 offset:340
	buffer_load_dword v34, off, s[36:39], 0 offset:344
	;; [unrolled: 1-line block ×4, first 2 shown]
	v_mov_b32_e32 v17, v23
	s_clause 0x3
	buffer_load_dword v41, off, s[36:39], 0 offset:308
	buffer_load_dword v42, off, s[36:39], 0 offset:312
	;; [unrolled: 1-line block ×4, first 2 shown]
	v_mov_b32_e32 v21, v16
	v_mad_u64_u32 v[28:29], null, s9, v140, v[17:18]
	v_mov_b32_e32 v23, v28
	v_mul_f64 v[16:17], v[0:1], s[2:3]
	v_mul_f64 v[18:19], v[2:3], s[2:3]
	v_lshlrev_b64 v[0:1], 4, v[20:21]
	v_lshlrev_b64 v[31:32], 4, v[22:23]
	ds_read_b128 v[20:23], v176 offset:1792
	v_add_co_u32 v0, s0, s6, v0
	v_add_co_ci_u32_e64 v1, s0, s7, v1, s0
	v_add_co_u32 v31, s0, v0, v31
	v_add_co_ci_u32_e64 v32, s0, v1, v32, s0
	s_mul_i32 s0, s9, 0x24c
	s_add_i32 s1, s1, s0
	s_mul_i32 s0, s8, 0x24c
	s_lshl_b64 s[4:5], s[0:1], 4
	s_mul_i32 s1, s9, 0xfffffdec
	v_add_co_u32 v49, s0, v31, s4
	v_add_co_ci_u32_e64 v50, s0, s5, v32, s0
	s_mul_hi_u32 s0, s8, 0xfffffdec
	s_sub_i32 s0, s0, s8
	s_add_i32 s1, s0, s1
	s_mul_i32 s0, s8, 0xfffffdec
	s_lshl_b64 s[6:7], s[0:1], 4
	s_waitcnt vmcnt(4) lgkmcnt(2)
	v_mul_f64 v[24:25], v[35:36], v[10:11]
	v_mul_f64 v[26:27], v[35:36], v[8:9]
	s_waitcnt vmcnt(0)
	v_mul_f64 v[2:3], v[43:44], v[6:7]
	v_mul_f64 v[29:30], v[43:44], v[4:5]
	v_fma_f64 v[24:25], v[33:34], v[8:9], v[24:25]
	v_fma_f64 v[33:34], v[33:34], v[10:11], -v[26:27]
	ds_read_b128 v[8:11], v176 offset:11200
	s_clause 0x3
	buffer_load_dword v57, off, s[36:39], 0 offset:324
	buffer_load_dword v58, off, s[36:39], 0 offset:328
	;; [unrolled: 1-line block ×4, first 2 shown]
	global_store_dwordx4 v[31:32], v[16:19], off
	ds_read_b128 v[16:19], v176 offset:2688
	s_clause 0x3
	buffer_load_dword v51, off, s[36:39], 0 offset:244
	buffer_load_dword v52, off, s[36:39], 0 offset:248
	;; [unrolled: 1-line block ×4, first 2 shown]
	v_fma_f64 v[39:40], v[41:42], v[4:5], v[2:3]
	v_fma_f64 v[28:29], v[41:42], v[6:7], -v[29:30]
	v_mul_f64 v[2:3], v[24:25], s[2:3]
	ds_read_b128 v[24:27], v176 offset:12096
	v_mul_f64 v[4:5], v[33:34], s[2:3]
	v_mul_f64 v[6:7], v[39:40], s[2:3]
	s_waitcnt vmcnt(4) lgkmcnt(4)
	v_mul_f64 v[35:36], v[59:60], v[14:15]
	v_mul_f64 v[37:38], v[59:60], v[12:13]
	s_waitcnt vmcnt(0) lgkmcnt(3)
	v_mul_f64 v[41:42], v[53:54], v[22:23]
	v_mul_f64 v[43:44], v[53:54], v[20:21]
	s_clause 0x3
	buffer_load_dword v53, off, s[36:39], 0 offset:292
	buffer_load_dword v54, off, s[36:39], 0 offset:296
	;; [unrolled: 1-line block ×4, first 2 shown]
	v_fma_f64 v[30:31], v[57:58], v[12:13], v[35:36]
	v_fma_f64 v[32:33], v[57:58], v[14:15], -v[37:38]
	ds_read_b128 v[12:15], v176 offset:3584
	s_clause 0x3
	buffer_load_dword v61, off, s[36:39], 0 offset:276
	buffer_load_dword v62, off, s[36:39], 0 offset:280
	;; [unrolled: 1-line block ×4, first 2 shown]
	v_fma_f64 v[40:41], v[51:52], v[20:21], v[41:42]
	v_fma_f64 v[42:43], v[51:52], v[22:23], -v[43:44]
	ds_read_b128 v[20:23], v176 offset:12992
	s_clause 0x3
	buffer_load_dword v67, off, s[36:39], 0 offset:212
	buffer_load_dword v68, off, s[36:39], 0 offset:216
	buffer_load_dword v69, off, s[36:39], 0 offset:220
	buffer_load_dword v70, off, s[36:39], 0 offset:224
	s_waitcnt vmcnt(8) lgkmcnt(4)
	v_mul_f64 v[45:46], v[55:56], v[10:11]
	v_mul_f64 v[47:48], v[55:56], v[8:9]
	s_waitcnt vmcnt(4) lgkmcnt(3)
	v_mul_f64 v[36:37], v[63:64], v[18:19]
	v_mul_f64 v[38:39], v[63:64], v[16:17]
	v_fma_f64 v[44:45], v[53:54], v[8:9], v[45:46]
	v_fma_f64 v[10:11], v[53:54], v[10:11], -v[47:48]
	v_mul_f64 v[8:9], v[28:29], s[2:3]
	v_mul_f64 v[28:29], v[30:31], s[2:3]
	;; [unrolled: 1-line block ×3, first 2 shown]
	s_waitcnt vmcnt(0) lgkmcnt(2)
	v_mul_f64 v[51:52], v[69:70], v[26:27]
	v_mul_f64 v[53:54], v[69:70], v[24:25]
	ds_read_b128 v[32:35], v176 offset:4480
	s_clause 0x3
	buffer_load_dword v69, off, s[36:39], 0 offset:228
	buffer_load_dword v70, off, s[36:39], 0 offset:232
	;; [unrolled: 1-line block ×4, first 2 shown]
	v_add_co_u32 v46, s0, v49, s6
	v_add_co_ci_u32_e64 v47, s0, s7, v50, s0
	v_fma_f64 v[59:60], v[61:62], v[16:17], v[36:37]
	v_fma_f64 v[61:62], v[61:62], v[18:19], -v[38:39]
	ds_read_b128 v[16:19], v176 offset:13888
	v_mul_f64 v[36:37], v[40:41], s[2:3]
	v_mul_f64 v[38:39], v[42:43], s[2:3]
	;; [unrolled: 1-line block ×4, first 2 shown]
	v_add_co_u32 v10, s0, v46, s4
	v_add_co_ci_u32_e64 v11, s0, s5, v47, s0
	v_fma_f64 v[26:27], v[67:68], v[26:27], -v[53:54]
	v_fma_f64 v[24:25], v[67:68], v[24:25], v[51:52]
	s_waitcnt vmcnt(0) lgkmcnt(3)
	v_mul_f64 v[55:56], v[71:72], v[14:15]
	v_mul_f64 v[57:58], v[71:72], v[12:13]
	s_clause 0x3
	buffer_load_dword v71, off, s[36:39], 0 offset:260
	buffer_load_dword v72, off, s[36:39], 0 offset:264
	;; [unrolled: 1-line block ×4, first 2 shown]
	global_store_dwordx4 v[49:50], v[2:5], off
	v_add_co_u32 v2, s0, v10, s6
	v_add_co_ci_u32_e64 v3, s0, s7, v11, s0
	global_store_dwordx4 v[46:47], v[6:9], off
	global_store_dwordx4 v[10:11], v[28:31], off
	;; [unrolled: 1-line block ×3, first 2 shown]
	v_mul_f64 v[6:7], v[59:60], s[2:3]
	v_mul_f64 v[8:9], v[61:62], s[2:3]
	;; [unrolled: 1-line block ×3, first 2 shown]
	v_fma_f64 v[44:45], v[69:70], v[12:13], v[55:56]
	v_add_co_u32 v12, s0, v2, s4
	v_add_co_ci_u32_e64 v13, s0, s5, v3, s0
	v_fma_f64 v[14:15], v[69:70], v[14:15], -v[57:58]
	ds_read_b128 v[2:5], v176 offset:5376
	v_add_co_u32 v46, s0, v12, s6
	global_store_dwordx4 v[12:13], v[40:43], off
	v_add_co_ci_u32_e64 v47, s0, s7, v13, s0
	v_mul_f64 v[12:13], v[26:27], s[2:3]
	s_waitcnt vmcnt(0) lgkmcnt(3)
	v_mul_f64 v[63:64], v[73:74], v[22:23]
	v_mul_f64 v[65:66], v[73:74], v[20:21]
	v_fma_f64 v[48:49], v[71:72], v[20:21], v[63:64]
	s_clause 0x7
	buffer_load_dword v60, off, s[36:39], 0 offset:196
	buffer_load_dword v61, off, s[36:39], 0 offset:200
	;; [unrolled: 1-line block ×8, first 2 shown]
	v_mul_f64 v[20:21], v[44:45], s[2:3]
	ds_read_b128 v[24:27], v176 offset:14784
	ds_read_b128 v[36:39], v176 offset:6272
	v_fma_f64 v[50:51], v[71:72], v[22:23], -v[65:66]
	v_mul_f64 v[22:23], v[14:15], s[2:3]
	v_mul_f64 v[28:29], v[48:49], s[2:3]
	;; [unrolled: 1-line block ×3, first 2 shown]
	v_add_co_u32 v50, s0, v46, s4
	v_add_co_ci_u32_e64 v51, s0, s5, v47, s0
	s_waitcnt vmcnt(4) lgkmcnt(4)
	v_mul_f64 v[40:41], v[62:63], v[34:35]
	s_waitcnt vmcnt(0) lgkmcnt(3)
	v_mul_f64 v[52:53], v[56:57], v[18:19]
	v_mul_f64 v[44:45], v[56:57], v[16:17]
	s_clause 0x3
	buffer_load_dword v56, off, s[36:39], 0 offset:180
	buffer_load_dword v57, off, s[36:39], 0 offset:184
	;; [unrolled: 1-line block ×4, first 2 shown]
	v_mul_f64 v[42:43], v[62:63], v[32:33]
	global_store_dwordx4 v[46:47], v[6:9], off
	ds_read_b128 v[6:9], v176 offset:15680
	v_fma_f64 v[32:33], v[60:61], v[32:33], v[40:41]
	v_add_co_u32 v40, s0, v50, s6
	v_add_co_ci_u32_e64 v41, s0, s7, v51, s0
	v_fma_f64 v[34:35], v[60:61], v[34:35], -v[42:43]
	v_add_co_u32 v46, s0, v40, s4
	v_add_co_ci_u32_e64 v47, s0, s5, v41, s0
	v_fma_f64 v[16:17], v[54:55], v[16:17], v[52:53]
	v_fma_f64 v[18:19], v[54:55], v[18:19], -v[44:45]
	s_waitcnt vmcnt(0) lgkmcnt(3)
	v_mul_f64 v[14:15], v[58:59], v[4:5]
	v_mul_f64 v[48:49], v[58:59], v[2:3]
	s_clause 0x3
	buffer_load_dword v58, off, s[36:39], 0 offset:164
	buffer_load_dword v59, off, s[36:39], 0 offset:168
	;; [unrolled: 1-line block ×4, first 2 shown]
	global_store_dwordx4 v[50:51], v[10:13], off
	global_store_dwordx4 v[40:41], v[20:23], off
	;; [unrolled: 1-line block ×3, first 2 shown]
	v_mul_f64 v[10:11], v[16:17], s[2:3]
	v_mul_f64 v[12:13], v[18:19], s[2:3]
	v_add_co_u32 v46, s0, v46, s6
	v_add_co_ci_u32_e64 v47, s0, s7, v47, s0
	v_add_co_u32 v50, s0, v46, s4
	v_add_co_ci_u32_e64 v51, s0, s5, v47, s0
	v_fma_f64 v[22:23], v[56:57], v[2:3], v[14:15]
	v_fma_f64 v[40:41], v[56:57], v[4:5], -v[48:49]
	s_clause 0x3
	buffer_load_dword v54, off, s[36:39], 0 offset:84
	buffer_load_dword v55, off, s[36:39], 0 offset:88
	;; [unrolled: 1-line block ×4, first 2 shown]
	v_mul_f64 v[2:3], v[32:33], s[2:3]
	s_clause 0x3
	buffer_load_dword v74, off, s[36:39], 0 offset:68
	buffer_load_dword v75, off, s[36:39], 0 offset:72
	;; [unrolled: 1-line block ×4, first 2 shown]
	ds_read_b128 v[14:17], v176 offset:7168
	ds_read_b128 v[18:21], v176 offset:16576
	v_mul_f64 v[4:5], v[34:35], s[2:3]
	v_mul_f64 v[22:23], v[22:23], s[2:3]
	s_waitcnt vmcnt(8) lgkmcnt(4)
	v_mul_f64 v[42:43], v[60:61], v[26:27]
	v_mul_f64 v[44:45], v[60:61], v[24:25]
	s_waitcnt vmcnt(4) lgkmcnt(3)
	v_mul_f64 v[30:31], v[56:57], v[38:39]
	v_fma_f64 v[42:43], v[58:59], v[24:25], v[42:43]
	v_fma_f64 v[44:45], v[58:59], v[26:27], -v[44:45]
	v_mul_f64 v[24:25], v[40:41], s[2:3]
	ds_read_b128 v[26:29], v176 offset:8064
	v_mul_f64 v[34:35], v[56:57], v[36:37]
	s_waitcnt vmcnt(0) lgkmcnt(3)
	v_mul_f64 v[48:49], v[76:77], v[8:9]
	v_mul_f64 v[52:53], v[76:77], v[6:7]
	v_fma_f64 v[40:41], v[54:55], v[36:37], v[30:31]
	ds_read_b128 v[30:33], v176 offset:17472
	s_clause 0xb
	buffer_load_dword v70, off, s[36:39], 0 offset:44
	buffer_load_dword v71, off, s[36:39], 0 offset:48
	;; [unrolled: 1-line block ×12, first 2 shown]
	v_fma_f64 v[38:39], v[54:55], v[38:39], -v[34:35]
	v_mul_f64 v[34:35], v[42:43], s[2:3]
	v_mul_f64 v[36:37], v[44:45], s[2:3]
	v_fma_f64 v[48:49], v[74:75], v[6:7], v[48:49]
	v_add_co_u32 v54, s0, v50, s6
	v_add_co_ci_u32_e64 v55, s0, s7, v51, s0
	v_add_co_u32 v60, s0, v54, s4
	v_add_co_ci_u32_e64 v61, s0, s5, v55, s0
	v_mul_f64 v[6:7], v[40:41], s[2:3]
	v_fma_f64 v[40:41], v[74:75], v[8:9], -v[52:53]
	v_add_co_u32 v52, s0, v60, s6
	v_add_co_ci_u32_e64 v53, s0, s7, v61, s0
	v_mul_f64 v[8:9], v[38:39], s[2:3]
	v_mul_f64 v[38:39], v[48:49], s[2:3]
	;; [unrolled: 1-line block ×3, first 2 shown]
	s_waitcnt vmcnt(8) lgkmcnt(3)
	v_mul_f64 v[58:59], v[72:73], v[14:15]
	s_waitcnt vmcnt(4) lgkmcnt(2)
	v_mul_f64 v[42:43], v[82:83], v[20:21]
	v_mul_f64 v[44:45], v[82:83], v[18:19]
	s_clause 0x3
	buffer_load_dword v82, off, s[36:39], 0 offset:132
	buffer_load_dword v83, off, s[36:39], 0 offset:136
	;; [unrolled: 1-line block ×4, first 2 shown]
	v_mul_f64 v[56:57], v[72:73], v[16:17]
	s_waitcnt vmcnt(4) lgkmcnt(1)
	v_mul_f64 v[62:63], v[78:79], v[28:29]
	v_mul_f64 v[64:65], v[78:79], v[26:27]
	v_fma_f64 v[16:17], v[70:71], v[16:17], -v[58:59]
	buffer_load_dword v58, off, s[36:39], 0 offset:32 ; 4-byte Folded Reload
	v_fma_f64 v[18:19], v[80:81], v[18:19], v[42:43]
	v_add_co_u32 v42, s0, v52, s4
	v_fma_f64 v[14:15], v[70:71], v[14:15], v[56:57]
	v_fma_f64 v[20:21], v[80:81], v[20:21], -v[44:45]
	v_add_co_ci_u32_e64 v43, s0, s5, v53, s0
	v_fma_f64 v[26:27], v[76:77], v[26:27], v[62:63]
	v_fma_f64 v[28:29], v[76:77], v[28:29], -v[64:65]
	global_store_dwordx4 v[46:47], v[2:5], off
	global_store_dwordx4 v[50:51], v[10:13], off
	;; [unrolled: 1-line block ×4, first 2 shown]
	v_mad_u64_u32 v[56:57], null, 0x380, s8, v[42:43]
	global_store_dwordx4 v[52:53], v[6:9], off
	global_store_dwordx4 v[42:43], v[38:41], off
	v_add_co_u32 v8, s0, v56, s6
	v_mul_f64 v[4:5], v[16:17], s[2:3]
	v_mul_f64 v[10:11], v[18:19], s[2:3]
	;; [unrolled: 1-line block ×3, first 2 shown]
	v_mov_b32_e32 v14, v57
	v_mul_f64 v[12:13], v[20:21], s[2:3]
	v_mul_f64 v[16:17], v[28:29], s[2:3]
	v_mad_u64_u32 v[22:23], null, 0x380, s9, v[14:15]
	v_mul_f64 v[14:15], v[26:27], s[2:3]
	v_mov_b32_e32 v57, v22
	v_add_co_ci_u32_e64 v9, s0, s7, v57, s0
	s_waitcnt vmcnt(1) lgkmcnt(0)
	v_mul_f64 v[66:67], v[84:85], v[32:33]
	v_mul_f64 v[68:69], v[84:85], v[30:31]
	s_waitcnt vmcnt(0)
	v_mad_u64_u32 v[48:49], null, s8, v58, 0
	v_fma_f64 v[30:31], v[82:83], v[30:31], v[66:67]
	v_fma_f64 v[32:33], v[82:83], v[32:33], -v[68:69]
	v_mov_b32_e32 v44, v49
	v_mad_u64_u32 v[44:45], null, s9, v58, v[44:45]
	v_mov_b32_e32 v49, v44
	v_mul_f64 v[18:19], v[30:31], s[2:3]
	v_mul_f64 v[20:21], v[32:33], s[2:3]
	v_lshlrev_b64 v[6:7], 4, v[48:49]
	v_add_co_u32 v6, s0, v0, v6
	v_add_co_ci_u32_e64 v7, s0, v1, v7, s0
	v_add_co_u32 v0, s0, v8, s4
	v_add_co_ci_u32_e64 v1, s0, s5, v9, s0
	global_store_dwordx4 v[6:7], v[2:5], off
	global_store_dwordx4 v[56:57], v[10:13], off
	;; [unrolled: 1-line block ×4, first 2 shown]
	s_and_b32 exec_lo, exec_lo, vcc_lo
	s_cbranch_execz .LBB0_31
; %bb.30:
	s_clause 0x1
	buffer_load_dword v2, off, s[36:39], 0 offset:24
	buffer_load_dword v3, off, s[36:39], 0 offset:28
	s_waitcnt vmcnt(0)
	global_load_dwordx4 v[2:5], v[2:3], off offset:768
	ds_read_b128 v[6:9], v176 offset:8960
	ds_read_b128 v[10:13], v176 offset:18368
	s_waitcnt vmcnt(0) lgkmcnt(1)
	v_mul_f64 v[14:15], v[8:9], v[4:5]
	v_mul_f64 v[4:5], v[6:7], v[4:5]
	v_fma_f64 v[6:7], v[6:7], v[2:3], v[14:15]
	v_fma_f64 v[4:5], v[2:3], v[8:9], -v[4:5]
	v_mul_f64 v[2:3], v[6:7], s[2:3]
	v_mul_f64 v[4:5], v[4:5], s[2:3]
	v_add_co_u32 v6, vcc_lo, v0, s6
	v_add_co_ci_u32_e32 v7, vcc_lo, s7, v1, vcc_lo
	global_store_dwordx4 v[6:7], v[2:5], off
	s_clause 0x1
	buffer_load_dword v0, off, s[36:39], 0 offset:60
	buffer_load_dword v1, off, s[36:39], 0 offset:64
	s_waitcnt vmcnt(0)
	global_load_dwordx4 v[0:3], v[0:1], off offset:1984
	s_waitcnt vmcnt(0) lgkmcnt(0)
	v_mul_f64 v[4:5], v[12:13], v[2:3]
	v_mul_f64 v[2:3], v[10:11], v[2:3]
	v_fma_f64 v[4:5], v[10:11], v[0:1], v[4:5]
	v_fma_f64 v[2:3], v[0:1], v[12:13], -v[2:3]
	v_mul_f64 v[0:1], v[4:5], s[2:3]
	v_mul_f64 v[2:3], v[2:3], s[2:3]
	v_add_co_u32 v4, vcc_lo, v6, s4
	v_add_co_ci_u32_e32 v5, vcc_lo, s5, v7, vcc_lo
	global_store_dwordx4 v[4:5], v[0:3], off
.LBB0_31:
	s_endpgm
	.section	.rodata,"a",@progbits
	.p2align	6, 0x0
	.amdhsa_kernel bluestein_single_back_len1176_dim1_dp_op_CI_CI
		.amdhsa_group_segment_fixed_size 18816
		.amdhsa_private_segment_fixed_size 732
		.amdhsa_kernarg_size 104
		.amdhsa_user_sgpr_count 6
		.amdhsa_user_sgpr_private_segment_buffer 1
		.amdhsa_user_sgpr_dispatch_ptr 0
		.amdhsa_user_sgpr_queue_ptr 0
		.amdhsa_user_sgpr_kernarg_segment_ptr 1
		.amdhsa_user_sgpr_dispatch_id 0
		.amdhsa_user_sgpr_flat_scratch_init 0
		.amdhsa_user_sgpr_private_segment_size 0
		.amdhsa_wavefront_size32 1
		.amdhsa_uses_dynamic_stack 0
		.amdhsa_system_sgpr_private_segment_wavefront_offset 1
		.amdhsa_system_sgpr_workgroup_id_x 1
		.amdhsa_system_sgpr_workgroup_id_y 0
		.amdhsa_system_sgpr_workgroup_id_z 0
		.amdhsa_system_sgpr_workgroup_info 0
		.amdhsa_system_vgpr_workitem_id 0
		.amdhsa_next_free_vgpr 256
		.amdhsa_next_free_sgpr 40
		.amdhsa_reserve_vcc 1
		.amdhsa_reserve_flat_scratch 0
		.amdhsa_float_round_mode_32 0
		.amdhsa_float_round_mode_16_64 0
		.amdhsa_float_denorm_mode_32 3
		.amdhsa_float_denorm_mode_16_64 3
		.amdhsa_dx10_clamp 1
		.amdhsa_ieee_mode 1
		.amdhsa_fp16_overflow 0
		.amdhsa_workgroup_processor_mode 1
		.amdhsa_memory_ordered 1
		.amdhsa_forward_progress 0
		.amdhsa_shared_vgpr_count 0
		.amdhsa_exception_fp_ieee_invalid_op 0
		.amdhsa_exception_fp_denorm_src 0
		.amdhsa_exception_fp_ieee_div_zero 0
		.amdhsa_exception_fp_ieee_overflow 0
		.amdhsa_exception_fp_ieee_underflow 0
		.amdhsa_exception_fp_ieee_inexact 0
		.amdhsa_exception_int_div_zero 0
	.end_amdhsa_kernel
	.text
.Lfunc_end0:
	.size	bluestein_single_back_len1176_dim1_dp_op_CI_CI, .Lfunc_end0-bluestein_single_back_len1176_dim1_dp_op_CI_CI
                                        ; -- End function
	.section	.AMDGPU.csdata,"",@progbits
; Kernel info:
; codeLenInByte = 32076
; NumSgprs: 42
; NumVgprs: 256
; ScratchSize: 732
; MemoryBound: 0
; FloatMode: 240
; IeeeMode: 1
; LDSByteSize: 18816 bytes/workgroup (compile time only)
; SGPRBlocks: 5
; VGPRBlocks: 31
; NumSGPRsForWavesPerEU: 42
; NumVGPRsForWavesPerEU: 256
; Occupancy: 3
; WaveLimiterHint : 1
; COMPUTE_PGM_RSRC2:SCRATCH_EN: 1
; COMPUTE_PGM_RSRC2:USER_SGPR: 6
; COMPUTE_PGM_RSRC2:TRAP_HANDLER: 0
; COMPUTE_PGM_RSRC2:TGID_X_EN: 1
; COMPUTE_PGM_RSRC2:TGID_Y_EN: 0
; COMPUTE_PGM_RSRC2:TGID_Z_EN: 0
; COMPUTE_PGM_RSRC2:TIDIG_COMP_CNT: 0
	.text
	.p2alignl 6, 3214868480
	.fill 48, 4, 3214868480
	.type	__hip_cuid_b3fd6518d4f458d,@object ; @__hip_cuid_b3fd6518d4f458d
	.section	.bss,"aw",@nobits
	.globl	__hip_cuid_b3fd6518d4f458d
__hip_cuid_b3fd6518d4f458d:
	.byte	0                               ; 0x0
	.size	__hip_cuid_b3fd6518d4f458d, 1

	.ident	"AMD clang version 19.0.0git (https://github.com/RadeonOpenCompute/llvm-project roc-6.4.0 25133 c7fe45cf4b819c5991fe208aaa96edf142730f1d)"
	.section	".note.GNU-stack","",@progbits
	.addrsig
	.addrsig_sym __hip_cuid_b3fd6518d4f458d
	.amdgpu_metadata
---
amdhsa.kernels:
  - .args:
      - .actual_access:  read_only
        .address_space:  global
        .offset:         0
        .size:           8
        .value_kind:     global_buffer
      - .actual_access:  read_only
        .address_space:  global
        .offset:         8
        .size:           8
        .value_kind:     global_buffer
      - .actual_access:  read_only
        .address_space:  global
        .offset:         16
        .size:           8
        .value_kind:     global_buffer
      - .actual_access:  read_only
        .address_space:  global
        .offset:         24
        .size:           8
        .value_kind:     global_buffer
      - .actual_access:  read_only
        .address_space:  global
        .offset:         32
        .size:           8
        .value_kind:     global_buffer
      - .offset:         40
        .size:           8
        .value_kind:     by_value
      - .address_space:  global
        .offset:         48
        .size:           8
        .value_kind:     global_buffer
      - .address_space:  global
        .offset:         56
        .size:           8
        .value_kind:     global_buffer
      - .address_space:  global
        .offset:         64
        .size:           8
        .value_kind:     global_buffer
      - .address_space:  global
        .offset:         72
        .size:           8
        .value_kind:     global_buffer
      - .offset:         80
        .size:           4
        .value_kind:     by_value
      - .address_space:  global
        .offset:         88
        .size:           8
        .value_kind:     global_buffer
      - .address_space:  global
        .offset:         96
        .size:           8
        .value_kind:     global_buffer
    .group_segment_fixed_size: 18816
    .kernarg_segment_align: 8
    .kernarg_segment_size: 104
    .language:       OpenCL C
    .language_version:
      - 2
      - 0
    .max_flat_workgroup_size: 56
    .name:           bluestein_single_back_len1176_dim1_dp_op_CI_CI
    .private_segment_fixed_size: 732
    .sgpr_count:     42
    .sgpr_spill_count: 0
    .symbol:         bluestein_single_back_len1176_dim1_dp_op_CI_CI.kd
    .uniform_work_group_size: 1
    .uses_dynamic_stack: false
    .vgpr_count:     256
    .vgpr_spill_count: 186
    .wavefront_size: 32
    .workgroup_processor_mode: 1
amdhsa.target:   amdgcn-amd-amdhsa--gfx1030
amdhsa.version:
  - 1
  - 2
...

	.end_amdgpu_metadata
